;; amdgpu-corpus repo=ROCm/rocFFT kind=compiled arch=gfx950 opt=O3
	.text
	.amdgcn_target "amdgcn-amd-amdhsa--gfx950"
	.amdhsa_code_object_version 6
	.protected	fft_rtc_fwd_len1600_factors_10_16_10_wgs_200_tpt_100_halfLds_sp_op_CI_CI_unitstride_sbrr_C2R_dirReg ; -- Begin function fft_rtc_fwd_len1600_factors_10_16_10_wgs_200_tpt_100_halfLds_sp_op_CI_CI_unitstride_sbrr_C2R_dirReg
	.globl	fft_rtc_fwd_len1600_factors_10_16_10_wgs_200_tpt_100_halfLds_sp_op_CI_CI_unitstride_sbrr_C2R_dirReg
	.p2align	8
	.type	fft_rtc_fwd_len1600_factors_10_16_10_wgs_200_tpt_100_halfLds_sp_op_CI_CI_unitstride_sbrr_C2R_dirReg,@function
fft_rtc_fwd_len1600_factors_10_16_10_wgs_200_tpt_100_halfLds_sp_op_CI_CI_unitstride_sbrr_C2R_dirReg: ; @fft_rtc_fwd_len1600_factors_10_16_10_wgs_200_tpt_100_halfLds_sp_op_CI_CI_unitstride_sbrr_C2R_dirReg
; %bb.0:
	s_load_dwordx4 s[4:7], s[0:1], 0x58
	s_load_dwordx4 s[8:11], s[0:1], 0x0
	;; [unrolled: 1-line block ×3, first 2 shown]
	v_mul_u32_u24_e32 v1, 0x290, v0
	v_lshrrev_b32_e32 v1, 16, v1
	v_lshl_add_u32 v6, s2, 1, v1
	v_mov_b32_e32 v4, 0
	s_waitcnt lgkmcnt(0)
	v_cmp_lt_u64_e64 s[2:3], s[10:11], 2
	v_mov_b32_e32 v7, v4
	s_and_b64 vcc, exec, s[2:3]
	v_mov_b64_e32 v[2:3], 0
	s_cbranch_vccnz .LBB0_8
; %bb.1:
	s_load_dwordx2 s[2:3], s[0:1], 0x10
	s_add_u32 s16, s14, 8
	s_addc_u32 s17, s15, 0
	s_add_u32 s18, s12, 8
	s_addc_u32 s19, s13, 0
	s_waitcnt lgkmcnt(0)
	s_add_u32 s20, s2, 8
	v_mov_b64_e32 v[2:3], 0
	s_addc_u32 s21, s3, 0
	s_mov_b64 s[22:23], 1
	v_mov_b64_e32 v[36:37], v[2:3]
.LBB0_2:                                ; =>This Inner Loop Header: Depth=1
	s_load_dwordx2 s[24:25], s[20:21], 0x0
                                        ; implicit-def: $vgpr38_vgpr39
	s_waitcnt lgkmcnt(0)
	v_or_b32_e32 v5, s25, v7
	v_cmp_ne_u64_e32 vcc, 0, v[4:5]
	s_and_saveexec_b64 s[2:3], vcc
	s_xor_b64 s[26:27], exec, s[2:3]
	s_cbranch_execz .LBB0_4
; %bb.3:                                ;   in Loop: Header=BB0_2 Depth=1
	v_cvt_f32_u32_e32 v5, s24
	v_cvt_f32_u32_e32 v8, s25
	s_sub_u32 s2, 0, s24
	s_subb_u32 s3, 0, s25
	v_fmac_f32_e32 v5, 0x4f800000, v8
	v_rcp_f32_e32 v5, v5
	s_nop 0
	v_mul_f32_e32 v5, 0x5f7ffffc, v5
	v_mul_f32_e32 v8, 0x2f800000, v5
	v_trunc_f32_e32 v8, v8
	v_fmac_f32_e32 v5, 0xcf800000, v8
	v_cvt_u32_f32_e32 v12, v8
	v_cvt_u32_f32_e32 v5, v5
	v_mul_lo_u32 v8, s2, v12
	v_mul_hi_u32 v10, s2, v5
	v_mul_lo_u32 v9, s3, v5
	v_add_u32_e32 v10, v10, v8
	v_mul_lo_u32 v13, s2, v5
	v_add_u32_e32 v14, v10, v9
	v_mul_hi_u32 v8, v5, v13
	v_mul_hi_u32 v11, v5, v14
	v_mul_lo_u32 v10, v5, v14
	v_mov_b32_e32 v9, v4
	v_lshl_add_u64 v[8:9], v[8:9], 0, v[10:11]
	v_mul_hi_u32 v11, v12, v13
	v_mul_lo_u32 v13, v12, v13
	v_add_co_u32_e32 v8, vcc, v8, v13
	v_mul_hi_u32 v10, v12, v14
	s_nop 0
	v_addc_co_u32_e32 v8, vcc, v9, v11, vcc
	v_mov_b32_e32 v9, v4
	s_nop 0
	v_addc_co_u32_e32 v11, vcc, 0, v10, vcc
	v_mul_lo_u32 v10, v12, v14
	v_lshl_add_u64 v[8:9], v[8:9], 0, v[10:11]
	v_add_co_u32_e32 v5, vcc, v5, v8
	v_mul_lo_u32 v10, s2, v5
	s_nop 0
	v_addc_co_u32_e32 v12, vcc, v12, v9, vcc
	v_mul_lo_u32 v8, s2, v12
	v_mul_hi_u32 v9, s2, v5
	v_add_u32_e32 v8, v9, v8
	v_mul_lo_u32 v9, s3, v5
	v_add_u32_e32 v13, v8, v9
	v_mul_hi_u32 v15, v12, v10
	v_mul_lo_u32 v16, v12, v10
	v_mul_hi_u32 v9, v5, v13
	v_mul_lo_u32 v8, v5, v13
	v_mul_hi_u32 v10, v5, v10
	v_mov_b32_e32 v11, v4
	v_lshl_add_u64 v[8:9], v[10:11], 0, v[8:9]
	v_add_co_u32_e32 v8, vcc, v8, v16
	v_mul_hi_u32 v14, v12, v13
	s_nop 0
	v_addc_co_u32_e32 v8, vcc, v9, v15, vcc
	v_mul_lo_u32 v10, v12, v13
	s_nop 0
	v_addc_co_u32_e32 v11, vcc, 0, v14, vcc
	v_mov_b32_e32 v9, v4
	v_lshl_add_u64 v[8:9], v[8:9], 0, v[10:11]
	v_add_co_u32_e32 v5, vcc, v5, v8
	v_mul_hi_u32 v10, v6, v5
	s_nop 0
	v_addc_co_u32_e32 v12, vcc, v12, v9, vcc
	v_mad_u64_u32 v[8:9], s[2:3], v6, v12, 0
	v_mov_b32_e32 v11, v4
	v_lshl_add_u64 v[8:9], v[10:11], 0, v[8:9]
	v_mad_u64_u32 v[10:11], s[2:3], v7, v12, 0
	v_mad_u64_u32 v[12:13], s[2:3], v7, v5, 0
	v_add_co_u32_e32 v5, vcc, v8, v12
	s_nop 1
	v_addc_co_u32_e32 v8, vcc, v9, v13, vcc
	v_mov_b32_e32 v9, v4
	s_nop 0
	v_addc_co_u32_e32 v11, vcc, 0, v11, vcc
	v_lshl_add_u64 v[8:9], v[8:9], 0, v[10:11]
	v_mul_lo_u32 v5, s25, v8
	v_mul_lo_u32 v12, s24, v9
	v_mad_u64_u32 v[10:11], s[2:3], s24, v8, 0
	v_add3_u32 v5, v11, v12, v5
	v_sub_u32_e32 v11, v7, v5
	v_mov_b32_e32 v12, s25
	v_sub_co_u32_e32 v14, vcc, v6, v10
	s_nop 1
	v_subb_co_u32_e64 v10, s[2:3], v11, v12, vcc
	v_subrev_co_u32_e64 v11, s[2:3], s24, v14
	v_subb_co_u32_e32 v5, vcc, v7, v5, vcc
	s_nop 0
	v_subbrev_co_u32_e64 v10, s[2:3], 0, v10, s[2:3]
	v_cmp_le_u32_e64 s[2:3], s25, v10
	v_cmp_le_u32_e32 vcc, s25, v5
	s_nop 0
	v_cndmask_b32_e64 v12, 0, -1, s[2:3]
	v_cmp_le_u32_e64 s[2:3], s24, v11
	s_nop 1
	v_cndmask_b32_e64 v11, 0, -1, s[2:3]
	v_cmp_eq_u32_e64 s[2:3], s25, v10
	s_nop 1
	v_cndmask_b32_e64 v15, v12, v11, s[2:3]
	v_lshl_add_u64 v[10:11], v[8:9], 0, 2
	v_lshl_add_u64 v[12:13], v[8:9], 0, 1
	v_cmp_ne_u32_e64 s[2:3], 0, v15
	s_nop 1
	v_cndmask_b32_e64 v11, v13, v11, s[2:3]
	v_cndmask_b32_e64 v13, 0, -1, vcc
	v_cmp_le_u32_e32 vcc, s24, v14
	s_nop 1
	v_cndmask_b32_e64 v14, 0, -1, vcc
	v_cmp_eq_u32_e32 vcc, s25, v5
	s_nop 1
	v_cndmask_b32_e32 v5, v13, v14, vcc
	v_cmp_ne_u32_e32 vcc, 0, v5
	v_cndmask_b32_e64 v5, v12, v10, s[2:3]
	s_nop 0
	v_cndmask_b32_e32 v39, v9, v11, vcc
	v_cndmask_b32_e32 v38, v8, v5, vcc
.LBB0_4:                                ;   in Loop: Header=BB0_2 Depth=1
	s_andn2_saveexec_b64 s[2:3], s[26:27]
	s_cbranch_execz .LBB0_6
; %bb.5:                                ;   in Loop: Header=BB0_2 Depth=1
	v_cvt_f32_u32_e32 v5, s24
	s_sub_i32 s26, 0, s24
	v_mov_b32_e32 v39, v4
	v_rcp_iflag_f32_e32 v5, v5
	s_nop 0
	v_mul_f32_e32 v5, 0x4f7ffffe, v5
	v_cvt_u32_f32_e32 v5, v5
	v_mul_lo_u32 v8, s26, v5
	v_mul_hi_u32 v8, v5, v8
	v_add_u32_e32 v5, v5, v8
	v_mul_hi_u32 v5, v6, v5
	v_mul_lo_u32 v8, v5, s24
	v_sub_u32_e32 v8, v6, v8
	v_add_u32_e32 v9, 1, v5
	v_subrev_u32_e32 v10, s24, v8
	v_cmp_le_u32_e32 vcc, s24, v8
	s_nop 1
	v_cndmask_b32_e32 v8, v8, v10, vcc
	v_cndmask_b32_e32 v5, v5, v9, vcc
	v_add_u32_e32 v9, 1, v5
	v_cmp_le_u32_e32 vcc, s24, v8
	s_nop 1
	v_cndmask_b32_e32 v38, v5, v9, vcc
.LBB0_6:                                ;   in Loop: Header=BB0_2 Depth=1
	s_or_b64 exec, exec, s[2:3]
	v_mad_u64_u32 v[8:9], s[2:3], v38, s24, 0
	s_load_dwordx2 s[2:3], s[18:19], 0x0
	v_mul_lo_u32 v5, v39, s24
	v_mul_lo_u32 v10, v38, s25
	s_load_dwordx2 s[24:25], s[16:17], 0x0
	s_add_u32 s22, s22, 1
	v_add3_u32 v5, v9, v10, v5
	v_sub_co_u32_e32 v6, vcc, v6, v8
	s_addc_u32 s23, s23, 0
	s_nop 0
	v_subb_co_u32_e32 v5, vcc, v7, v5, vcc
	s_add_u32 s16, s16, 8
	s_waitcnt lgkmcnt(0)
	v_mul_lo_u32 v7, s2, v5
	v_mul_lo_u32 v8, s3, v6
	v_mad_u64_u32 v[2:3], s[2:3], s2, v6, v[2:3]
	s_addc_u32 s17, s17, 0
	v_add3_u32 v3, v8, v3, v7
	v_mul_lo_u32 v5, s24, v5
	v_mul_lo_u32 v7, s25, v6
	v_mad_u64_u32 v[36:37], s[2:3], s24, v6, v[36:37]
	s_add_u32 s18, s18, 8
	v_add3_u32 v37, v7, v37, v5
	s_addc_u32 s19, s19, 0
	v_mov_b64_e32 v[6:7], s[10:11]
	s_add_u32 s20, s20, 8
	v_cmp_ge_u64_e32 vcc, s[22:23], v[6:7]
	s_addc_u32 s21, s21, 0
	s_cbranch_vccnz .LBB0_9
; %bb.7:                                ;   in Loop: Header=BB0_2 Depth=1
	v_mov_b64_e32 v[6:7], v[38:39]
	s_branch .LBB0_2
.LBB0_8:
	v_mov_b64_e32 v[36:37], v[2:3]
	v_mov_b64_e32 v[38:39], v[6:7]
.LBB0_9:
	s_load_dwordx2 s[2:3], s[0:1], 0x28
	s_lshl_b64 s[16:17], s[10:11], 3
	s_add_u32 s14, s14, s16
	v_and_b32_e32 v1, 1, v1
	s_addc_u32 s15, s15, s17
	v_cmp_eq_u32_e32 vcc, 1, v1
	v_mov_b32_e32 v1, 0x641
	s_waitcnt lgkmcnt(0)
	v_cmp_gt_u64_e64 s[0:1], s[2:3], v[38:39]
	v_cmp_le_u64_e64 s[2:3], s[2:3], v[38:39]
                                        ; implicit-def: $vgpr40
	s_and_saveexec_b64 s[10:11], s[2:3]
	s_xor_b64 s[2:3], exec, s[10:11]
; %bb.10:
	s_mov_b32 s10, 0x28f5c29
	v_mul_hi_u32 v2, v0, s10
	v_mul_u32_u24_e32 v2, 0x64, v2
	v_sub_u32_e32 v40, v0, v2
                                        ; implicit-def: $vgpr0
                                        ; implicit-def: $vgpr2_vgpr3
; %bb.11:
	s_or_saveexec_b64 s[10:11], s[2:3]
	s_load_dwordx2 s[2:3], s[14:15], 0x0
	v_cndmask_b32_e32 v53, 0, v1, vcc
	v_lshlrev_b32_e32 v51, 3, v53
	s_xor_b64 exec, exec, s[10:11]
	s_cbranch_execz .LBB0_15
; %bb.12:
	s_add_u32 s12, s12, s16
	s_addc_u32 s13, s13, s17
	s_load_dwordx2 s[12:13], s[12:13], 0x0
	s_mov_b32 s14, 0x28f5c29
	s_waitcnt lgkmcnt(0)
	v_mul_lo_u32 v1, s13, v38
	v_mul_lo_u32 v6, s12, v39
	v_mad_u64_u32 v[4:5], s[12:13], s12, v38, 0
	v_add3_u32 v5, v5, v6, v1
	v_mul_hi_u32 v1, v0, s14
	v_mul_u32_u24_e32 v1, 0x64, v1
	v_sub_u32_e32 v40, v0, v1
	v_lshl_add_u64 v[0:1], v[4:5], 3, s[4:5]
	v_lshl_add_u64 v[0:1], v[2:3], 3, v[0:1]
	v_lshlrev_b32_e32 v2, 3, v40
	v_mov_b32_e32 v3, 0
	v_lshl_add_u64 v[4:5], v[0:1], 0, v[2:3]
	s_movk_i32 s4, 0x1000
	v_add_co_u32_e32 v14, vcc, s4, v4
	s_movk_i32 s4, 0x2000
	s_nop 0
	v_addc_co_u32_e32 v15, vcc, 0, v5, vcc
	global_load_dwordx2 v[6:7], v[4:5], off
	global_load_dwordx2 v[8:9], v[4:5], off offset:800
	global_load_dwordx2 v[10:11], v[4:5], off offset:1600
	;; [unrolled: 1-line block ×7, first 2 shown]
	v_add_co_u32_e32 v4, vcc, s4, v4
	s_movk_i32 s4, 0x63
	s_nop 0
	v_addc_co_u32_e32 v5, vcc, 0, v5, vcc
	global_load_dwordx2 v[24:25], v[14:15], off offset:2304
	global_load_dwordx2 v[26:27], v[14:15], off offset:3104
	;; [unrolled: 1-line block ×8, first 2 shown]
	v_add3_u32 v2, 0, v51, v2
	v_cmp_eq_u32_e32 vcc, s4, v40
	v_add_u32_e32 v3, 0x400, v2
	v_add_u32_e32 v4, 0x800, v2
	;; [unrolled: 1-line block ×7, first 2 shown]
	s_waitcnt vmcnt(14)
	ds_write2_b64 v2, v[6:7], v[8:9] offset1:100
	s_waitcnt vmcnt(12)
	ds_write2_b64 v3, v[10:11], v[12:13] offset0:72 offset1:172
	s_waitcnt vmcnt(10)
	ds_write2_b64 v4, v[16:17], v[18:19] offset0:144 offset1:244
	;; [unrolled: 2-line block ×7, first 2 shown]
	s_and_saveexec_b64 s[4:5], vcc
	s_cbranch_execz .LBB0_14
; %bb.13:
	v_add_co_u32_e32 v0, vcc, 0x3000, v0
	v_mov_b32_e32 v40, 0x63
	s_nop 0
	v_addc_co_u32_e32 v1, vcc, 0, v1, vcc
	global_load_dwordx2 v[0:1], v[0:1], off offset:512
	s_waitcnt vmcnt(0)
	ds_write_b64 v2, v[0:1] offset:12008
.LBB0_14:
	s_or_b64 exec, exec, s[4:5]
.LBB0_15:
	s_or_b64 exec, exec, s[10:11]
	v_lshl_add_u32 v54, v53, 3, 0
	v_lshlrev_b32_e32 v0, 3, v40
	v_add_u32_e32 v50, v54, v0
	s_waitcnt lgkmcnt(0)
	s_barrier
	v_sub_u32_e32 v4, v54, v0
	ds_read_b32 v1, v50
	ds_read_b32 v2, v4 offset:12800
	s_add_u32 s4, s8, 0x31b0
	s_addc_u32 s5, s9, 0
	v_cmp_ne_u32_e32 vcc, 0, v40
	s_waitcnt lgkmcnt(0)
	v_add_f32_e32 v0, v2, v1
	v_sub_f32_e32 v1, v1, v2
                                        ; implicit-def: $vgpr2_vgpr3
	s_and_saveexec_b64 s[10:11], vcc
	s_xor_b64 s[10:11], exec, s[10:11]
	s_cbranch_execz .LBB0_17
; %bb.16:
	v_mov_b32_e32 v41, 0
	v_lshl_add_u64 v[2:3], v[40:41], 3, s[4:5]
	global_load_dwordx2 v[6:7], v[2:3], off
	ds_read_b32 v5, v4 offset:12804
	ds_read_b32 v11, v50 offset:4
	v_mov_b32_e32 v8, v1
	v_mov_b32_e32 v10, v0
	;; [unrolled: 1-line block ×3, first 2 shown]
	v_mov_b64_e32 v[2:3], v[40:41]
	s_waitcnt lgkmcnt(0)
	v_add_f32_e32 v9, v5, v11
	v_sub_f32_e32 v11, v11, v5
	v_mov_b32_e32 v12, v9
	s_waitcnt vmcnt(0)
	v_pk_mul_f32 v[14:15], v[8:9], v[6:7] op_sel:[0,1]
	v_pk_fma_f32 v[8:9], v[8:9], v[6:7], v[10:11] op_sel:[0,1,0]
	v_mov_b32_e32 v1, v15
	v_mov_b32_e32 v15, v11
	v_pk_fma_f32 v[16:17], v[6:7], v[12:13], v[8:9] neg_lo:[1,0,0] neg_hi:[1,0,0]
	v_pk_fma_f32 v[8:9], v[6:7], v[12:13], v[8:9] op_sel_hi:[0,1,1]
	v_pk_add_f32 v[0:1], v[0:1], v[14:15] neg_lo:[0,1] neg_hi:[0,1]
	v_mov_b32_e32 v17, v9
	v_pk_fma_f32 v[0:1], v[6:7], v[12:13], v[0:1] op_sel_hi:[0,1,1]
	ds_write_b64 v4, v[0:1] offset:12800
	v_mov_b64_e32 v[0:1], v[16:17]
.LBB0_17:
	s_andn2_saveexec_b64 s[10:11], s[10:11]
	s_cbranch_execz .LBB0_19
; %bb.18:
	ds_read_b64 v[2:3], v54 offset:6400
	s_mov_b32 s12, 2.0
	s_mov_b32 s13, -2.0
	s_waitcnt lgkmcnt(0)
	v_pk_mul_f32 v[2:3], v[2:3], s[12:13]
	ds_write_b64 v54, v[2:3] offset:6400
	v_mov_b64_e32 v[2:3], 0
.LBB0_19:
	s_or_b64 exec, exec, s[10:11]
	v_lshl_add_u64 v[2:3], v[2:3], 3, s[4:5]
	global_load_dwordx2 v[6:7], v[2:3], off offset:800
	global_load_dwordx2 v[8:9], v[2:3], off offset:1600
	;; [unrolled: 1-line block ×4, first 2 shown]
	ds_write_b64 v50, v[0:1]
	ds_read_b64 v[0:1], v4 offset:12000
	ds_read_b64 v[14:15], v50 offset:800
	global_load_dwordx2 v[16:17], v[2:3], off offset:4000
	s_movk_i32 s4, 0x1000
	v_add_co_u32_e32 v2, vcc, s4, v2
	s_waitcnt lgkmcnt(0)
	v_pk_add_f32 v[18:19], v[14:15], v[0:1]
	v_pk_add_f32 v[0:1], v[14:15], v[0:1] neg_lo:[0,1] neg_hi:[0,1]
	v_mov_b32_e32 v14, v19
	v_mov_b32_e32 v15, v0
	;; [unrolled: 1-line block ×3, first 2 shown]
	v_addc_co_u32_e32 v3, vcc, 0, v3, vcc
	v_lshl_add_u32 v55, v40, 3, 0
	v_add_u32_e32 v41, v55, v51
	v_add_u32_e32 v5, 0x800, v41
	;; [unrolled: 1-line block ×5, first 2 shown]
	s_mov_b32 s4, 0x3f737871
	s_mov_b32 s5, 0xbf737871
	;; [unrolled: 1-line block ×7, first 2 shown]
	s_movk_i32 s13, 0x48
	v_mad_u32_u24 v55, v40, s13, v55
	v_add_u32_e32 v90, v55, v51
	s_mov_b32 s13, s10
	v_cmp_gt_u32_e32 vcc, 60, v40
	s_waitcnt vmcnt(4)
	v_pk_mul_f32 v[20:21], v[14:15], v[6:7] op_sel:[0,1]
	s_nop 0
	v_pk_add_f32 v[22:23], v[18:19], v[20:21] op_sel:[0,1] op_sel_hi:[1,0]
	v_mov_b32_e32 v19, v20
	v_mov_b32_e32 v0, v21
	v_pk_fma_f32 v[20:21], v[6:7], v[14:15], v[22:23] neg_lo:[1,0,0] neg_hi:[1,0,0]
	v_pk_fma_f32 v[22:23], v[6:7], v[14:15], v[22:23] op_sel_hi:[0,1,1]
	v_pk_add_f32 v[0:1], v[18:19], v[0:1] neg_lo:[0,1] neg_hi:[0,1]
	v_mov_b32_e32 v21, v23
	v_pk_fma_f32 v[0:1], v[6:7], v[14:15], v[0:1] op_sel_hi:[0,1,1]
	ds_write_b64 v50, v[20:21] offset:800
	ds_write_b64 v4, v[0:1] offset:12000
	ds_read_b64 v[0:1], v4 offset:11200
	ds_read_b64 v[6:7], v50 offset:1600
	global_load_dwordx2 v[14:15], v[2:3], off offset:704
	s_waitcnt lgkmcnt(0)
	v_pk_add_f32 v[18:19], v[6:7], v[0:1]
	v_pk_add_f32 v[0:1], v[6:7], v[0:1] neg_lo:[0,1] neg_hi:[0,1]
	v_mov_b32_e32 v6, v19
	v_mov_b32_e32 v7, v0
	;; [unrolled: 1-line block ×3, first 2 shown]
	s_waitcnt vmcnt(4)
	v_pk_mul_f32 v[20:21], v[6:7], v[8:9] op_sel:[0,1]
	s_nop 0
	v_pk_add_f32 v[22:23], v[18:19], v[20:21] op_sel:[0,1] op_sel_hi:[1,0]
	v_mov_b32_e32 v19, v20
	v_mov_b32_e32 v0, v21
	v_pk_fma_f32 v[20:21], v[8:9], v[6:7], v[22:23] neg_lo:[1,0,0] neg_hi:[1,0,0]
	v_pk_fma_f32 v[22:23], v[8:9], v[6:7], v[22:23] op_sel_hi:[0,1,1]
	v_pk_add_f32 v[0:1], v[18:19], v[0:1] neg_lo:[0,1] neg_hi:[0,1]
	v_mov_b32_e32 v21, v23
	v_pk_fma_f32 v[0:1], v[8:9], v[6:7], v[0:1] op_sel_hi:[0,1,1]
	ds_write_b64 v50, v[20:21] offset:1600
	ds_write_b64 v4, v[0:1] offset:11200
	ds_read_b64 v[0:1], v4 offset:10400
	ds_read_b64 v[6:7], v50 offset:2400
	global_load_dwordx2 v[2:3], v[2:3], off offset:1504
	s_waitcnt lgkmcnt(0)
	v_pk_add_f32 v[8:9], v[6:7], v[0:1]
	v_pk_add_f32 v[0:1], v[6:7], v[0:1] neg_lo:[0,1] neg_hi:[0,1]
	v_mov_b32_e32 v6, v9
	v_mov_b32_e32 v7, v0
	v_mov_b32_e32 v9, v1
	s_waitcnt vmcnt(4)
	v_pk_mul_f32 v[18:19], v[6:7], v[10:11] op_sel:[0,1]
	s_nop 0
	v_pk_add_f32 v[20:21], v[8:9], v[18:19] op_sel:[0,1] op_sel_hi:[1,0]
	v_mov_b32_e32 v9, v18
	v_mov_b32_e32 v0, v19
	v_pk_fma_f32 v[18:19], v[10:11], v[6:7], v[20:21] neg_lo:[1,0,0] neg_hi:[1,0,0]
	v_pk_fma_f32 v[20:21], v[10:11], v[6:7], v[20:21] op_sel_hi:[0,1,1]
	v_pk_add_f32 v[0:1], v[8:9], v[0:1] neg_lo:[0,1] neg_hi:[0,1]
	v_mov_b32_e32 v19, v21
	v_pk_fma_f32 v[0:1], v[10:11], v[6:7], v[0:1] op_sel_hi:[0,1,1]
	ds_write_b64 v50, v[18:19] offset:2400
	ds_write_b64 v4, v[0:1] offset:10400
	ds_read_b64 v[0:1], v4 offset:9600
	ds_read_b64 v[6:7], v50 offset:3200
	s_waitcnt lgkmcnt(0)
	v_pk_add_f32 v[8:9], v[6:7], v[0:1]
	v_pk_add_f32 v[0:1], v[6:7], v[0:1] neg_lo:[0,1] neg_hi:[0,1]
	v_mov_b32_e32 v6, v9
	v_mov_b32_e32 v7, v0
	v_mov_b32_e32 v9, v1
	s_waitcnt vmcnt(3)
	v_pk_mul_f32 v[10:11], v[6:7], v[12:13] op_sel:[0,1]
	s_nop 0
	v_pk_add_f32 v[18:19], v[8:9], v[10:11] op_sel:[0,1] op_sel_hi:[1,0]
	v_mov_b32_e32 v9, v10
	v_mov_b32_e32 v0, v11
	v_pk_fma_f32 v[10:11], v[12:13], v[6:7], v[18:19] neg_lo:[1,0,0] neg_hi:[1,0,0]
	v_pk_fma_f32 v[18:19], v[12:13], v[6:7], v[18:19] op_sel_hi:[0,1,1]
	v_pk_add_f32 v[0:1], v[8:9], v[0:1] neg_lo:[0,1] neg_hi:[0,1]
	v_mov_b32_e32 v11, v19
	v_pk_fma_f32 v[0:1], v[12:13], v[6:7], v[0:1] op_sel_hi:[0,1,1]
	ds_write_b64 v50, v[10:11] offset:3200
	ds_write_b64 v4, v[0:1] offset:9600
	ds_read_b64 v[0:1], v4 offset:8800
	ds_read_b64 v[6:7], v50 offset:4000
	;; [unrolled: 21-line block ×4, first 2 shown]
	v_add_u32_e32 v14, 0x1000, v41
	v_add_u32_e32 v15, 0x1400, v41
	s_waitcnt lgkmcnt(0)
	v_pk_add_f32 v[8:9], v[6:7], v[0:1]
	v_pk_add_f32 v[0:1], v[6:7], v[0:1] neg_lo:[0,1] neg_hi:[0,1]
	v_mov_b32_e32 v6, v9
	v_mov_b32_e32 v7, v0
	;; [unrolled: 1-line block ×3, first 2 shown]
	s_waitcnt vmcnt(0)
	v_pk_mul_f32 v[10:11], v[6:7], v[2:3] op_sel:[0,1]
	s_nop 0
	v_pk_add_f32 v[12:13], v[8:9], v[10:11] op_sel:[0,1] op_sel_hi:[1,0]
	v_mov_b32_e32 v9, v10
	v_mov_b32_e32 v0, v11
	v_pk_fma_f32 v[10:11], v[2:3], v[6:7], v[12:13] neg_lo:[1,0,0] neg_hi:[1,0,0]
	v_pk_fma_f32 v[12:13], v[2:3], v[6:7], v[12:13] op_sel_hi:[0,1,1]
	v_pk_add_f32 v[0:1], v[8:9], v[0:1] neg_lo:[0,1] neg_hi:[0,1]
	v_mov_b32_e32 v11, v13
	v_pk_fma_f32 v[0:1], v[2:3], v[6:7], v[0:1] op_sel_hi:[0,1,1]
	ds_write_b64 v50, v[10:11] offset:5600
	ds_write_b64 v4, v[0:1] offset:7200
	s_waitcnt lgkmcnt(0)
	s_barrier
	s_barrier
	ds_read2_b64 v[8:11], v41 offset0:100 offset1:160
	ds_read2_b64 v[0:3], v5 offset0:4 offset1:64
	;; [unrolled: 1-line block ×7, first 2 shown]
	v_add_u32_e32 v24, 0x2400, v41
	ds_read2_b64 v[24:27], v24 offset0:68 offset1:128
	ds_read2_b64 v[32:35], v32 offset0:100 offset1:160
	s_waitcnt lgkmcnt(5)
	v_pk_add_f32 v[44:45], v[6:7], v[2:3] neg_lo:[0,1] neg_hi:[0,1]
	s_waitcnt lgkmcnt(2)
	v_pk_add_f32 v[48:49], v[22:23], v[30:31] neg_lo:[0,1] neg_hi:[0,1]
	v_pk_add_f32 v[60:61], v[22:23], v[18:19] neg_lo:[0,1] neg_hi:[0,1]
	s_waitcnt lgkmcnt(1)
	v_pk_add_f32 v[46:47], v[14:15], v[26:27] neg_lo:[0,1] neg_hi:[0,1]
	v_pk_add_f32 v[42:43], v[12:13], v[24:25] op_sel:[1,1] op_sel_hi:[0,0]
	v_pk_add_f32 v[46:47], v[44:45], v[46:47]
	s_waitcnt lgkmcnt(0)
	v_pk_add_f32 v[44:45], v[18:19], v[34:35]
	v_pk_mul_f32 v[58:59], v[48:49], s[4:5] op_sel_hi:[1,0]
	v_pk_fma_f32 v[56:57], v[44:45], 0.5, v[10:11] op_sel_hi:[1,0,1] neg_lo:[1,0,0] neg_hi:[1,0,0]
	ds_read_b64 v[44:45], v41 offset:12320
	v_pk_add_f32 v[62:63], v[30:31], v[34:35] neg_lo:[0,1] neg_hi:[0,1]
	v_pk_fma_f32 v[42:43], v[42:43], 0.5, v[0:1] op_sel:[0,0,1] op_sel_hi:[1,0,0] neg_lo:[1,0,0] neg_hi:[1,0,0]
	v_pk_add_f32 v[60:61], v[60:61], v[62:63]
	v_pk_add_f32 v[62:63], v[56:57], v[58:59] op_sel:[0,1] op_sel_hi:[1,0] neg_lo:[0,1] neg_hi:[0,1]
	v_pk_add_f32 v[56:57], v[56:57], v[58:59] op_sel:[0,1] op_sel_hi:[1,0]
	ds_read_b64 v[58:59], v50
	s_waitcnt lgkmcnt(1)
	v_pk_add_f32 v[64:65], v[4:5], v[44:45] neg_lo:[0,1] neg_hi:[0,1]
	v_pk_add_f32 v[68:69], v[12:13], v[24:25] neg_lo:[0,1] neg_hi:[0,1]
	v_pk_fma_f32 v[66:67], v[64:65], s[4:5], v[42:43] op_sel_hi:[1,0,1]
	v_pk_fma_f32 v[42:43], v[64:65], s[4:5], v[42:43] op_sel_hi:[1,0,1] neg_lo:[1,0,0] neg_hi:[1,0,0]
	v_pk_add_f32 v[70:71], v[20:21], v[28:29] neg_lo:[0,1] neg_hi:[0,1]
	v_pk_fma_f32 v[66:67], v[68:69], s[10:11], v[66:67] op_sel_hi:[1,0,1]
	v_pk_fma_f32 v[42:43], v[68:69], s[10:11], v[42:43] op_sel_hi:[1,0,1] neg_lo:[1,0,0] neg_hi:[1,0,0]
	v_pk_mul_f32 v[72:73], v[70:71], s[10:11] op_sel_hi:[1,0]
	s_mov_b32 s11, s12
	v_pk_add_f32 v[74:75], v[18:19], v[34:35] neg_lo:[0,1] neg_hi:[0,1]
	s_waitcnt lgkmcnt(0)
	v_pk_mul_f32 v[76:77], v[74:75], s[10:11] op_sel_hi:[1,0]
	s_barrier
	v_pk_add_f32 v[56:57], v[56:57], v[76:77] op_sel:[0,1] op_sel_hi:[1,0] neg_lo:[0,1] neg_hi:[0,1]
	v_pk_add_f32 v[62:63], v[62:63], v[76:77] op_sel:[0,1] op_sel_hi:[1,0]
	v_mov_b32_e32 v77, v57
	v_mov_b32_e32 v76, v62
	v_pk_fma_f32 v[76:77], v[60:61], s[14:15], v[76:77] op_sel_hi:[1,0,1]
	v_mov_b32_e32 v57, v63
	v_pk_mul_f32 v[78:79], v[76:77], s[4:5] op_sel_hi:[1,0]
	v_pk_fma_f32 v[56:57], v[60:61], s[14:15], v[56:57] op_sel_hi:[1,0,1]
	v_pk_fma_f32 v[80:81], v[76:77], s[14:15], v[78:79] op_sel:[0,0,1] op_sel_hi:[1,0,0]
	v_pk_fma_f32 v[76:77], v[76:77], s[14:15], v[78:79] op_sel:[0,0,1] op_sel_hi:[1,0,0] neg_lo:[0,0,1] neg_hi:[0,0,1]
	v_pk_add_f32 v[78:79], v[6:7], v[14:15] neg_lo:[0,1] neg_hi:[0,1]
	v_mov_b32_e32 v81, v77
	v_pk_add_f32 v[76:77], v[2:3], v[26:27]
	v_pk_mul_f32 v[82:83], v[78:79], s[4:5] op_sel_hi:[1,0]
	v_pk_fma_f32 v[76:77], v[76:77], 0.5, v[58:59] op_sel_hi:[1,0,1] neg_lo:[1,0,0] neg_hi:[1,0,0]
	v_pk_mul_f32 v[60:61], v[56:57], s[14:15] op_sel_hi:[1,0]
	v_pk_add_f32 v[84:85], v[76:77], v[82:83] op_sel:[0,1] op_sel_hi:[1,0] neg_lo:[0,1] neg_hi:[0,1]
	v_pk_add_f32 v[76:77], v[76:77], v[82:83] op_sel:[0,1] op_sel_hi:[1,0]
	v_pk_add_f32 v[82:83], v[2:3], v[26:27] neg_lo:[0,1] neg_hi:[0,1]
	v_pk_fma_f32 v[56:57], v[56:57], s[16:17], v[60:61] op_sel:[0,0,1] op_sel_hi:[1,1,0] neg_lo:[0,0,1] neg_hi:[0,0,1]
	v_pk_mul_f32 v[86:87], v[82:83], s[10:11] op_sel_hi:[1,0]
	s_nop 0
	v_pk_add_f32 v[76:77], v[76:77], v[86:87] op_sel:[0,1] op_sel_hi:[1,0] neg_lo:[0,1] neg_hi:[0,1]
	v_pk_add_f32 v[84:85], v[84:85], v[86:87] op_sel:[0,1] op_sel_hi:[1,0]
	v_mov_b32_e32 v61, v77
	v_mov_b32_e32 v60, v84
	;; [unrolled: 1-line block ×3, first 2 shown]
	v_pk_fma_f32 v[60:61], v[46:47], s[14:15], v[60:61] op_sel_hi:[1,0,1]
	v_pk_fma_f32 v[46:47], v[46:47], s[14:15], v[76:77] op_sel_hi:[1,0,1]
	v_pk_add_f32 v[62:63], v[60:61], v[80:81]
	v_pk_add_f32 v[76:77], v[46:47], v[56:57] op_sel:[0,1] op_sel_hi:[1,0]
	ds_write2_b64 v90, v[62:63], v[76:77] offset0:2 offset1:3
	v_pk_add_f32 v[62:63], v[2:3], v[6:7] neg_lo:[0,1] neg_hi:[0,1]
	v_pk_add_f32 v[76:77], v[26:27], v[14:15] neg_lo:[0,1] neg_hi:[0,1]
	v_pk_mul_f32 v[82:83], v[82:83], s[4:5] op_sel_hi:[1,0]
	v_pk_add_f32 v[62:63], v[62:63], v[76:77]
	v_pk_add_f32 v[76:77], v[6:7], v[14:15]
	v_pk_mul_f32 v[78:79], v[78:79], s[10:11] op_sel_hi:[1,0]
	v_pk_fma_f32 v[76:77], v[76:77], 0.5, v[58:59] op_sel_hi:[1,0,1] neg_lo:[1,0,0] neg_hi:[1,0,0]
	v_pk_mul_f32 v[74:75], v[74:75], s[4:5] op_sel_hi:[1,0]
	v_pk_add_f32 v[84:85], v[76:77], v[82:83] op_sel:[0,1] op_sel_hi:[1,0]
	v_pk_add_f32 v[76:77], v[76:77], v[82:83] op_sel:[0,1] op_sel_hi:[1,0] neg_lo:[0,1] neg_hi:[0,1]
	v_pk_add_f32 v[82:83], v[18:19], v[22:23] neg_lo:[0,1] neg_hi:[0,1]
	v_pk_add_f32 v[76:77], v[76:77], v[78:79] op_sel:[0,1] op_sel_hi:[1,0] neg_lo:[0,1] neg_hi:[0,1]
	v_pk_add_f32 v[78:79], v[84:85], v[78:79] op_sel:[0,1] op_sel_hi:[1,0]
	v_pk_add_f32 v[84:85], v[34:35], v[30:31] neg_lo:[0,1] neg_hi:[0,1]
	v_pk_mul_f32 v[48:49], v[48:49], s[10:11] op_sel_hi:[1,0]
	v_pk_add_f32 v[82:83], v[82:83], v[84:85]
	v_pk_add_f32 v[84:85], v[22:23], v[30:31]
	;; [unrolled: 1-line block ×3, first 2 shown]
	v_pk_fma_f32 v[84:85], v[84:85], 0.5, v[10:11] op_sel_hi:[1,0,1] neg_lo:[1,0,0] neg_hi:[1,0,0]
	v_pk_add_f32 v[2:3], v[2:3], v[6:7]
	v_pk_add_f32 v[86:87], v[84:85], v[74:75] op_sel:[0,1] op_sel_hi:[1,0]
	v_pk_add_f32 v[74:75], v[84:85], v[74:75] op_sel:[0,1] op_sel_hi:[1,0] neg_lo:[0,1] neg_hi:[0,1]
	v_pk_add_f32 v[84:85], v[48:49], v[86:87] op_sel:[1,0] op_sel_hi:[0,1]
	v_pk_add_f32 v[48:49], v[74:75], v[48:49] op_sel:[0,1] op_sel_hi:[1,0] neg_lo:[0,1] neg_hi:[0,1]
	v_pk_fma_f32 v[74:75], v[82:83], s[14:15], v[84:85] op_sel_hi:[1,0,1]
	v_pk_add_f32 v[6:7], v[10:11], v[18:19]
	v_pk_mul_f32 v[74:75], v[74:75], s[12:13] op_sel_hi:[0,1]
	v_pk_fma_f32 v[86:87], v[82:83], s[14:15], v[48:49] op_sel_hi:[1,0,1]
	v_pk_add_f32 v[6:7], v[6:7], v[22:23]
	v_pk_fma_f32 v[88:89], v[86:87], s[10:11], v[74:75] op_sel:[1,0,0]
	v_pk_fma_f32 v[74:75], v[86:87], s[10:11], v[74:75] op_sel:[1,0,0] neg_lo:[0,0,1] neg_hi:[0,0,1]
	v_pk_add_f32 v[2:3], v[2:3], v[14:15]
	v_pk_add_f32 v[6:7], v[6:7], v[30:31]
	v_mov_b32_e32 v10, v78
	v_mov_b32_e32 v11, v77
	;; [unrolled: 1-line block ×3, first 2 shown]
	v_pk_add_f32 v[2:3], v[2:3], v[26:27]
	v_pk_add_f32 v[6:7], v[6:7], v[34:35]
	v_pk_fma_f32 v[10:11], v[62:63], s[14:15], v[10:11] op_sel_hi:[1,0,1]
	v_pk_add_f32 v[14:15], v[2:3], v[6:7]
	v_pk_add_f32 v[18:19], v[10:11], v[88:89]
	v_mov_b32_e32 v77, v79
	v_mov_b32_e32 v49, v85
	ds_write2_b64 v90, v[14:15], v[18:19] offset1:1
	v_pk_fma_f32 v[14:15], v[62:63], s[14:15], v[76:77] op_sel_hi:[1,0,1]
	v_pk_fma_f32 v[18:19], v[82:83], s[14:15], v[48:49] op_sel_hi:[1,0,1]
	s_mov_b32 s15, 0xbf167918
	s_mov_b32 s16, s15
	;; [unrolled: 1-line block ×3, first 2 shown]
	v_pk_mul_f32 v[22:23], v[18:19], s[12:13] op_sel_hi:[1,0]
	v_pk_add_f32 v[2:3], v[2:3], v[6:7] neg_lo:[0,1] neg_hi:[0,1]
	v_pk_fma_f32 v[18:19], v[18:19], s[16:17], v[22:23] op_sel:[0,0,1] op_sel_hi:[1,1,0] neg_lo:[0,0,1] neg_hi:[0,0,1]
	s_nop 0
	v_pk_add_f32 v[6:7], v[14:15], v[18:19] op_sel:[1,0] op_sel_hi:[0,1]
	v_mov_b32_e32 v22, v7
	v_mov_b32_e32 v23, v6
	ds_write2_b64 v90, v[22:23], v[2:3] offset0:4 offset1:5
	v_pk_add_f32 v[2:3], v[10:11], v[88:89] neg_lo:[0,1] neg_hi:[0,1]
	v_pk_add_f32 v[6:7], v[60:61], v[80:81] neg_lo:[0,1] neg_hi:[0,1]
	ds_write2_b64 v90, v[2:3], v[6:7] offset0:6 offset1:7
	v_pk_add_f32 v[6:7], v[14:15], v[18:19] op_sel:[1,0] op_sel_hi:[0,1] neg_lo:[0,1] neg_hi:[0,1]
	v_pk_add_f32 v[2:3], v[46:47], v[56:57] op_sel:[0,1] op_sel_hi:[1,0] neg_lo:[0,1] neg_hi:[0,1]
	v_mov_b32_e32 v10, v7
	v_mov_b32_e32 v11, v6
	ds_write2_b64 v90, v[2:3], v[10:11] offset0:8 offset1:9
	v_pk_add_f32 v[2:3], v[16:17], v[20:21] neg_lo:[0,1] neg_hi:[0,1]
	v_pk_add_f32 v[6:7], v[32:33], v[28:29] neg_lo:[0,1] neg_hi:[0,1]
	v_pk_add_f32 v[18:19], v[16:17], v[32:33] neg_lo:[0,1] neg_hi:[0,1]
	v_pk_add_f32 v[6:7], v[2:3], v[6:7]
	v_pk_add_f32 v[2:3], v[20:21], v[28:29]
	v_pk_mul_f32 v[10:11], v[18:19], s[4:5] op_sel_hi:[1,0]
	v_pk_fma_f32 v[2:3], v[2:3], 0.5, v[8:9] op_sel_hi:[1,0,1] neg_lo:[1,0,0] neg_hi:[1,0,0]
	v_pk_add_f32 v[22:23], v[44:45], v[24:25] op_sel:[1,1] op_sel_hi:[0,0] neg_lo:[0,1] neg_hi:[0,1]
	v_pk_add_f32 v[14:15], v[2:3], v[10:11] op_sel:[0,1] op_sel_hi:[1,0]
	v_pk_add_f32 v[2:3], v[2:3], v[10:11] op_sel:[0,1] op_sel_hi:[1,0] neg_lo:[0,1] neg_hi:[0,1]
	v_pk_add_f32 v[10:11], v[14:15], v[72:73] op_sel:[0,1] op_sel_hi:[1,0]
	v_pk_add_f32 v[14:15], v[4:5], v[12:13] op_sel:[1,1] op_sel_hi:[0,0] neg_lo:[0,1] neg_hi:[0,1]
	v_pk_add_f32 v[14:15], v[14:15], v[22:23]
	v_pk_add_f32 v[2:3], v[2:3], v[72:73] op_sel:[0,1] op_sel_hi:[1,0] neg_lo:[0,1] neg_hi:[0,1]
	v_pk_fma_f32 v[22:23], v[14:15], s[14:15], v[66:67] op_sel_hi:[1,0,1]
	v_mov_b32_e32 v67, v43
	v_pk_fma_f32 v[26:27], v[14:15], s[14:15], v[42:43] op_sel_hi:[1,0,1]
	v_pk_fma_f32 v[30:31], v[14:15], s[14:15], v[66:67] op_sel_hi:[1,0,1]
	v_mov_b32_e32 v14, v2
	v_mov_b32_e32 v15, v11
	;; [unrolled: 1-line block ×3, first 2 shown]
	v_pk_fma_f32 v[2:3], v[6:7], s[14:15], v[14:15] op_sel_hi:[1,0,1]
	v_pk_fma_f32 v[10:11], v[6:7], s[14:15], v[10:11] op_sel_hi:[1,0,1]
	v_pk_mul_f32 v[6:7], v[22:23], s[12:13] op_sel:[1,0]
	v_pk_mul_f32 v[18:19], v[18:19], s[10:11] op_sel_hi:[1,0]
	v_pk_fma_f32 v[22:23], v[26:27], s[10:11], v[6:7] op_sel_hi:[0,1,1] neg_lo:[0,0,1] neg_hi:[0,0,1]
	v_pk_fma_f32 v[14:15], v[26:27], s[10:11], v[6:7] op_sel_hi:[0,1,1]
	v_mov_b32_e32 v15, v23
	v_pk_add_f32 v[6:7], v[20:21], v[16:17] neg_lo:[0,1] neg_hi:[0,1]
	v_pk_add_f32 v[22:23], v[28:29], v[32:33] neg_lo:[0,1] neg_hi:[0,1]
	v_pk_mul_f32 v[26:27], v[70:71], s[4:5] op_sel_hi:[1,0]
	v_pk_add_f32 v[6:7], v[6:7], v[22:23]
	v_pk_add_f32 v[22:23], v[16:17], v[32:33]
	s_nop 0
	v_pk_fma_f32 v[22:23], v[22:23], 0.5, v[8:9] op_sel_hi:[1,0,1] neg_lo:[1,0,0] neg_hi:[1,0,0]
	s_nop 0
	v_pk_add_f32 v[34:35], v[22:23], v[26:27] op_sel:[0,1] op_sel_hi:[1,0] neg_lo:[0,1] neg_hi:[0,1]
	v_pk_add_f32 v[22:23], v[22:23], v[26:27] op_sel:[0,1] op_sel_hi:[1,0]
	v_pk_add_f32 v[26:27], v[34:35], v[18:19] op_sel:[0,1] op_sel_hi:[1,0]
	v_pk_add_f32 v[18:19], v[22:23], v[18:19] op_sel:[0,1] op_sel_hi:[1,0] neg_lo:[0,1] neg_hi:[0,1]
	v_pk_add_f32 v[22:23], v[12:13], v[4:5] op_sel:[1,1] op_sel_hi:[0,0] neg_lo:[0,1] neg_hi:[0,1]
	;; [unrolled: 1-line block ×3, first 2 shown]
	v_pk_add_f32 v[34:35], v[22:23], v[34:35]
	v_pk_add_f32 v[22:23], v[4:5], v[44:45] op_sel:[1,1] op_sel_hi:[0,0]
	v_pk_fma_f32 v[22:23], v[22:23], 0.5, v[0:1] op_sel:[0,0,1] op_sel_hi:[1,0,0] neg_lo:[1,0,0] neg_hi:[1,0,0]
	s_nop 0
	v_pk_fma_f32 v[42:43], v[68:69], s[4:5], v[22:23] op_sel_hi:[1,0,1]
	v_pk_fma_f32 v[22:23], v[68:69], s[4:5], v[22:23] op_sel_hi:[1,0,1] neg_lo:[1,0,0] neg_hi:[1,0,0]
	v_pk_fma_f32 v[42:43], v[64:65], s[10:11], v[42:43] op_sel_hi:[1,0,1] neg_lo:[1,0,0] neg_hi:[1,0,0]
	v_pk_fma_f32 v[46:47], v[64:65], s[10:11], v[22:23] op_sel_hi:[1,0,1]
	v_mov_b32_e32 v22, v18
	v_mov_b32_e32 v23, v27
	;; [unrolled: 1-line block ×3, first 2 shown]
	v_pk_fma_f32 v[18:19], v[6:7], s[14:15], v[22:23] op_sel_hi:[1,0,1]
	v_pk_fma_f32 v[22:23], v[6:7], s[14:15], v[26:27] op_sel_hi:[1,0,1]
	v_mov_b32_e32 v7, v43
	v_mov_b32_e32 v43, v47
	;; [unrolled: 1-line block ×3, first 2 shown]
	v_pk_fma_f32 v[26:27], v[34:35], s[14:15], v[42:43] op_sel_hi:[1,0,1]
	v_pk_fma_f32 v[6:7], v[34:35], s[14:15], v[6:7] op_sel_hi:[1,0,1]
	v_pk_mul_f32 v[34:35], v[26:27], s[4:5] op_sel_hi:[1,0]
	s_nop 0
	v_pk_fma_f32 v[42:43], v[26:27], s[14:15], v[34:35] op_sel:[0,0,1] op_sel_hi:[1,0,0] neg_lo:[0,0,1] neg_hi:[0,0,1]
	v_pk_fma_f32 v[26:27], v[26:27], s[14:15], v[34:35] op_sel:[0,0,1] op_sel_hi:[1,0,0]
	v_mov_b32_e32 v49, v42
	v_mov_b32_e32 v48, v27
	v_pk_mul_f32 v[26:27], v[6:7], s[14:15] op_sel_hi:[1,0]
	s_mov_b32 s14, s10
	v_pk_fma_f32 v[46:47], v[6:7], s[4:5], v[26:27] op_sel:[0,0,1] op_sel_hi:[1,1,0] neg_lo:[0,0,1] neg_hi:[0,0,1]
	v_pk_mul_f32 v[6:7], v[30:31], s[12:13] op_sel_hi:[1,0]
	v_pk_add_f32 v[34:35], v[22:23], v[48:49] neg_lo:[0,1] neg_hi:[0,1]
	v_pk_fma_f32 v[26:27], v[30:31], s[14:15], v[6:7] op_sel:[0,0,1] op_sel_hi:[1,1,0] neg_lo:[0,0,1] neg_hi:[0,0,1]
	v_pk_add_f32 v[6:7], v[10:11], v[14:15] neg_lo:[0,1] neg_hi:[0,1]
	v_pk_add_f32 v[42:43], v[18:19], v[46:47] neg_lo:[0,1] neg_hi:[0,1]
	;; [unrolled: 1-line block ×3, first 2 shown]
	s_and_saveexec_b64 s[4:5], vcc
	s_cbranch_execz .LBB0_21
; %bb.20:
	v_pk_add_f32 v[8:9], v[8:9], v[16:17]
	v_pk_add_f32 v[0:1], v[0:1], v[4:5]
	;; [unrolled: 1-line block ×6, first 2 shown]
	v_lshl_add_u32 v53, v53, 3, v55
	v_pk_add_f32 v[8:9], v[8:9], v[32:33]
	v_pk_add_f32 v[0:1], v[0:1], v[44:45]
	v_add_u32_e32 v56, 0x1f40, v53
	v_pk_add_f32 v[4:5], v[8:9], v[0:1]
	v_pk_add_f32 v[10:11], v[10:11], v[14:15]
	ds_write2_b64 v56, v[4:5], v[10:11] offset1:1
	v_add_u32_e32 v12, 0x1f50, v53
	v_pk_add_f32 v[4:5], v[22:23], v[48:49]
	v_pk_add_f32 v[10:11], v[18:19], v[46:47]
	ds_write2_b64 v12, v[4:5], v[10:11] offset1:1
	v_add_u32_e32 v4, 0x1f60, v53
	v_pk_add_f32 v[2:3], v[2:3], v[26:27]
	v_pk_add_f32 v[0:1], v[8:9], v[0:1] neg_lo:[0,1] neg_hi:[0,1]
	ds_write2_b64 v4, v[2:3], v[0:1] offset1:1
	v_add_u32_e32 v0, 0x1f70, v53
	ds_write2_b64 v0, v[6:7], v[34:35] offset1:1
	v_add_u32_e32 v0, 0x1f80, v53
	ds_write2_b64 v0, v[42:43], v[30:31] offset1:1
.LBB0_21:
	s_or_b64 exec, exec, s[4:5]
	s_movk_i32 s4, 0xcd
	v_mul_lo_u16_sdwa v0, v40, s4 dst_sel:DWORD dst_unused:UNUSED_PAD src0_sel:BYTE_0 src1_sel:DWORD
	v_lshrrev_b16_e32 v53, 11, v0
	v_mul_lo_u16_e32 v0, 10, v53
	v_sub_u16_e32 v89, v40, v0
	v_mov_b32_e32 v0, 15
	v_mul_u32_u24_sdwa v0, v89, v0 dst_sel:DWORD dst_unused:UNUSED_PAD src0_sel:BYTE_0 src1_sel:DWORD
	v_lshlrev_b32_e32 v48, 3, v0
	s_waitcnt lgkmcnt(0)
	s_barrier
	global_load_dwordx4 v[8:11], v48, s[8:9] offset:32
	global_load_dwordx4 v[12:15], v48, s[8:9] offset:48
	;; [unrolled: 1-line block ×5, first 2 shown]
	global_load_dwordx2 v[4:5], v48, s[8:9] offset:112
	global_load_dwordx4 v[56:59], v48, s[8:9]
	v_mul_i32_i24_e32 v28, 0xffffffb8, v40
	v_add3_u32 v55, v55, v28, v51
	v_add_u32_e32 v64, 0xc00, v55
	v_add_u32_e32 v68, 0x1c00, v55
	ds_read2_b64 v[24:27], v52 offset0:32 offset1:132
	ds_read2_b64 v[44:47], v55 offset0:100 offset1:200
	v_add_u32_e32 v49, 0x800, v55
	ds_read_b64 v[28:29], v50
	ds_read_b64 v[32:33], v55 offset:5600
	ds_read2_b64 v[60:63], v49 offset0:44 offset1:144
	ds_read2_b64 v[64:67], v64 offset0:116 offset1:216
	;; [unrolled: 1-line block ×3, first 2 shown]
	global_load_dwordx4 v[72:75], v48, s[8:9] offset:16
	v_add_u32_e32 v76, 0x2400, v55
	v_add_u32_e32 v80, 0x2800, v55
	ds_read2_b64 v[76:79], v76 offset0:48 offset1:148
	ds_read2_b64 v[80:83], v80 offset0:120 offset1:220
	s_waitcnt lgkmcnt(3)
	v_mov_b32_e32 v84, v65
	v_mov_b32_e32 v48, v33
	s_waitcnt lgkmcnt(2)
	v_mov_b32_e32 v86, v69
	s_waitcnt lgkmcnt(1)
	v_mov_b32_e32 v88, v79
	s_mov_b32 s4, 0x3f3504f3
	s_mov_b32 s10, 0x3f6c835e
	;; [unrolled: 1-line block ×3, first 2 shown]
	s_waitcnt lgkmcnt(0)
	s_barrier
	s_waitcnt vmcnt(7)
	v_mov_b32_e32 v92, v9
	v_mov_b32_e32 v94, v11
	v_pk_mul_f32 v[90:91], v[64:65], v[8:9]
	s_waitcnt vmcnt(6)
	v_mov_b32_e32 v100, v13
	v_pk_mul_f32 v[64:65], v[64:65], v[92:93]
	v_pk_mul_f32 v[92:93], v[66:67], v[94:95] op_sel:[1,0] op_sel_hi:[0,1]
	v_pk_mul_f32 v[96:97], v[66:67], v[10:11] op_sel:[1,0] op_sel_hi:[0,1]
	v_pk_mul_f32 v[98:99], v[32:33], v[12:13]
	v_pk_fma_f32 v[10:11], v[66:67], v[10:11], v[92:93] neg_lo:[0,0,1] neg_hi:[0,0,1]
	v_mov_b32_e32 v66, v15
	v_pk_mul_f32 v[92:93], v[24:25], v[14:15] op_sel:[1,0] op_sel_hi:[0,1]
	v_pk_fma_f32 v[8:9], v[84:85], v[8:9], v[64:65]
	v_pk_mul_f32 v[32:33], v[32:33], v[100:101]
	s_waitcnt vmcnt(5)
	v_mov_b32_e32 v64, v17
	v_pk_mul_f32 v[84:85], v[26:27], v[16:17] op_sel:[1,0] op_sel_hi:[0,1]
	v_pk_fma_f32 v[12:13], v[48:49], v[12:13], v[32:33]
	v_pk_mul_f32 v[48:49], v[24:25], v[66:67] op_sel:[1,0] op_sel_hi:[0,1]
	v_mov_b32_e32 v9, v92
	v_pk_mul_f32 v[94:95], v[68:69], v[18:19]
	v_pk_fma_f32 v[48:49], v[24:25], v[14:15], v[48:49] neg_lo:[0,0,1] neg_hi:[0,0,1]
	v_pk_fma_f32 v[14:15], v[24:25], v[14:15], v[8:9] op_sel:[1,0,0] op_sel_hi:[0,1,1]
	v_pk_mul_f32 v[64:65], v[26:27], v[64:65] op_sel:[1,0] op_sel_hi:[0,1]
	v_mov_b32_e32 v9, v84
	v_mov_b32_e32 v94, v19
	s_waitcnt vmcnt(4)
	v_pk_mul_f32 v[24:25], v[70:71], v[0:1] op_sel:[1,0] op_sel_hi:[0,1]
	s_waitcnt vmcnt(3)
	v_pk_mul_f32 v[66:67], v[78:79], v[20:21]
	v_pk_fma_f32 v[64:65], v[26:27], v[16:17], v[64:65] neg_lo:[0,0,1] neg_hi:[0,0,1]
	v_pk_fma_f32 v[16:17], v[26:27], v[16:17], v[8:9] op_sel:[1,0,0] op_sel_hi:[0,1,1]
	v_pk_mul_f32 v[26:27], v[80:81], v[22:23] op_sel:[1,0] op_sel_hi:[0,1]
	v_mov_b32_e32 v14, v21
	v_mov_b32_e32 v32, v1
	;; [unrolled: 1-line block ×8, first 2 shown]
	v_pk_mul_f32 v[92:93], v[68:69], v[94:95]
	v_mov_b32_e32 v9, v24
	v_pk_mul_f32 v[24:25], v[78:79], v[14:15]
	v_pk_fma_f32 v[86:87], v[86:87], v[18:19], v[92:93]
	v_mov_b32_e32 v92, v95
	v_pk_mul_f32 v[32:33], v[70:71], v[32:33] op_sel:[1,0] op_sel_hi:[0,1]
	v_pk_fma_f32 v[20:21], v[88:89], v[20:21], v[24:25]
	v_pk_add_f32 v[24:25], v[90:91], v[26:27]
	s_waitcnt vmcnt(2)
	v_pk_mul_f32 v[26:27], v[82:83], v[4:5]
	v_pk_fma_f32 v[18:19], v[68:69], v[18:19], v[92:93] neg_lo:[0,0,1] neg_hi:[0,0,1]
	v_pk_fma_f32 v[32:33], v[70:71], v[0:1], v[32:33] neg_lo:[0,0,1] neg_hi:[0,0,1]
	v_pk_fma_f32 v[0:1], v[70:71], v[0:1], v[8:9] op_sel:[1,0,0] op_sel_hi:[0,1,1]
	v_mov_b32_e32 v68, v98
	v_mov_b32_e32 v69, v26
	;; [unrolled: 1-line block ×4, first 2 shown]
	v_pk_add_f32 v[26:27], v[68:69], v[26:27] neg_lo:[0,1] neg_hi:[0,1]
	v_mov_b32_e32 v0, v83
	v_pk_mul_f32 v[68:69], v[82:83], v[14:15]
	v_mov_b32_e32 v19, v86
	v_pk_fma_f32 v[4:5], v[0:1], v[4:5], v[68:69]
	s_waitcnt vmcnt(1)
	v_pk_mul_f32 v[68:69], v[56:57], v[44:45] op_sel:[0,1]
	v_mul_u32_u24_e32 v0, 0xa0, v53
	v_pk_fma_f32 v[70:71], v[56:57], v[44:45], v[68:69] op_sel:[0,0,1] op_sel_hi:[1,1,0] neg_lo:[0,0,1] neg_hi:[0,0,1]
	v_pk_fma_f32 v[44:45], v[56:57], v[44:45], v[68:69] op_sel:[0,0,1] op_sel_hi:[1,0,0]
	v_or_b32_sdwa v0, v0, v89 dst_sel:DWORD dst_unused:UNUSED_PAD src0_sel:DWORD src1_sel:BYTE_0
	v_mov_b32_e32 v71, v45
	v_pk_mul_f32 v[44:45], v[58:59], v[46:47] op_sel:[0,1]
	v_lshlrev_b32_e32 v0, 3, v0
	v_pk_fma_f32 v[56:57], v[58:59], v[46:47], v[44:45] op_sel:[0,0,1] op_sel_hi:[1,1,0] neg_lo:[0,0,1] neg_hi:[0,0,1]
	v_pk_fma_f32 v[44:45], v[58:59], v[46:47], v[44:45] op_sel:[0,0,1] op_sel_hi:[1,0,0]
	v_mov_b32_e32 v33, v1
	v_mov_b32_e32 v57, v45
	s_waitcnt vmcnt(0)
	v_pk_mul_f32 v[44:45], v[72:73], v[60:61] op_sel:[0,1]
	v_pk_add_f32 v[66:67], v[84:85], v[66:67] neg_lo:[0,1] neg_hi:[0,1]
	v_pk_fma_f32 v[46:47], v[72:73], v[60:61], v[44:45] op_sel:[0,0,1] op_sel_hi:[1,1,0] neg_lo:[0,0,1] neg_hi:[0,0,1]
	v_pk_fma_f32 v[44:45], v[72:73], v[60:61], v[44:45] op_sel:[0,0,1] op_sel_hi:[1,0,0]
	v_add3_u32 v51, 0, v0, v51
	v_mov_b32_e32 v47, v45
	v_pk_add_f32 v[18:19], v[56:57], v[18:19] neg_lo:[0,1] neg_hi:[0,1]
	v_pk_add_f32 v[0:1], v[46:47], v[32:33] neg_lo:[0,1] neg_hi:[0,1]
	v_mov_b32_e32 v16, v23
	v_pk_fma_f32 v[44:45], v[56:57], 2.0, v[18:19] op_sel_hi:[1,0,1] neg_lo:[0,0,1] neg_hi:[0,0,1]
	v_mov_b32_e32 v65, v17
	v_mov_b32_e32 v56, v66
	v_mov_b32_e32 v57, v8
	v_mov_b32_e32 v8, v67
	v_mov_b32_e32 v9, v20
	v_pk_fma_f32 v[32:33], v[46:47], 2.0, v[0:1] op_sel_hi:[1,0,1] neg_lo:[0,0,1] neg_hi:[0,0,1]
	v_mov_b32_e32 v46, v26
	v_mov_b32_e32 v47, v12
	v_mov_b32_e32 v12, v27
	v_mov_b32_e32 v13, v4
	v_pk_mul_f32 v[78:79], v[80:81], v[16:17] op_sel:[1,0] op_sel_hi:[0,1]
	v_mov_b32_e32 v49, v15
	v_pk_add_f32 v[16:17], v[70:71], v[64:65] neg_lo:[0,1] neg_hi:[0,1]
	v_pk_add_f32 v[8:9], v[56:57], v[8:9] neg_lo:[0,1] neg_hi:[0,1]
	;; [unrolled: 1-line block ×4, first 2 shown]
	v_pk_fma_f32 v[48:49], v[70:71], 2.0, v[16:17] op_sel_hi:[1,0,1] neg_lo:[0,0,1] neg_hi:[0,0,1]
	v_pk_fma_f32 v[20:21], v[56:57], 2.0, v[8:9] op_sel_hi:[1,0,1] neg_lo:[0,0,1] neg_hi:[0,0,1]
	;; [unrolled: 1-line block ×3, first 2 shown]
	v_pk_add_f32 v[20:21], v[48:49], v[20:21] neg_lo:[0,1] neg_hi:[0,1]
	v_pk_add_f32 v[12:13], v[32:33], v[12:13] neg_lo:[0,1] neg_hi:[0,1]
	v_pk_fma_f32 v[26:27], v[48:49], 2.0, v[20:21] op_sel_hi:[1,0,1] neg_lo:[0,0,1] neg_hi:[0,0,1]
	v_pk_fma_f32 v[32:33], v[32:33], 2.0, v[12:13] op_sel_hi:[1,0,1] neg_lo:[0,0,1] neg_hi:[0,0,1]
	v_mov_b32_e32 v48, v75
	v_pk_add_f32 v[46:47], v[26:27], v[32:33] neg_lo:[0,1] neg_hi:[0,1]
	v_pk_mul_f32 v[32:33], v[62:63], v[74:75] op_sel_hi:[1,0]
	v_pk_fma_f32 v[22:23], v[80:81], v[22:23], v[78:79] neg_lo:[0,0,1] neg_hi:[0,0,1]
	v_pk_fma_f32 v[56:57], v[62:63], v[48:49], v[32:33] op_sel:[0,0,1] op_sel_hi:[1,0,0]
	v_pk_fma_f32 v[32:33], v[62:63], v[48:49], v[32:33] op_sel:[0,0,1] op_sel_hi:[1,0,0] neg_lo:[1,0,0] neg_hi:[1,0,0]
	v_pk_mul_f32 v[48:49], v[76:77], v[2:3] op_sel_hi:[1,0]
	v_mov_b32_e32 v2, v3
	v_mov_b32_e32 v32, v3
	v_pk_fma_f32 v[2:3], v[76:77], v[2:3], v[48:49] op_sel:[0,0,1] op_sel_hi:[1,1,0]
	v_pk_fma_f32 v[48:49], v[76:77], v[32:33], v[48:49] op_sel:[0,0,1] op_sel_hi:[1,0,0] neg_lo:[1,0,0] neg_hi:[1,0,0]
	v_mov_b32_e32 v57, v33
	v_mov_b32_e32 v3, v49
	v_pk_add_f32 v[2:3], v[56:57], v[2:3] neg_lo:[0,1] neg_hi:[0,1]
	v_mov_b32_e32 v48, v24
	v_fma_f32 v32, v33, 2.0, -v3
	v_fma_f32 v33, v56, 2.0, -v2
	v_mov_b32_e32 v49, v10
	v_mov_b32_e32 v56, v25
	;; [unrolled: 1-line block ×3, first 2 shown]
	v_pk_add_f32 v[22:23], v[48:49], v[56:57] neg_lo:[0,1] neg_hi:[0,1]
	v_pk_fma_f32 v[28:29], v[28:29], 2.0, v[14:15] op_sel_hi:[1,0,1] neg_lo:[0,0,1] neg_hi:[0,0,1]
	v_fma_f32 v11, v10, 2.0, -v23
	v_fma_f32 v10, v24, 2.0, -v22
	v_pk_add_f32 v[24:25], v[14:15], v[2:3] neg_lo:[0,1] neg_hi:[0,1]
	v_pk_add_f32 v[2:3], v[14:15], v[2:3]
	v_pk_add_f32 v[10:11], v[44:45], v[10:11] op_sel:[1,0] op_sel_hi:[0,1] neg_lo:[0,1] neg_hi:[0,1]
	v_mov_b32_e32 v25, v3
	v_pk_fma_f32 v[2:3], v[14:15], 2.0, v[24:25] op_sel_hi:[1,0,1] neg_lo:[0,0,1] neg_hi:[0,0,1]
	v_pk_add_f32 v[14:15], v[18:19], v[22:23] neg_lo:[0,1] neg_hi:[0,1]
	v_pk_add_f32 v[22:23], v[18:19], v[22:23]
	v_pk_fma_f32 v[26:27], v[26:27], 2.0, v[46:47] op_sel_hi:[1,0,1] neg_lo:[0,0,1] neg_hi:[0,0,1]
	v_mov_b32_e32 v15, v23
	v_pk_add_f32 v[22:23], v[16:17], v[8:9] op_sel:[0,1] op_sel_hi:[1,0] neg_lo:[0,1] neg_hi:[0,1]
	v_pk_add_f32 v[8:9], v[16:17], v[8:9] op_sel:[0,1] op_sel_hi:[1,0]
	v_pk_fma_f32 v[18:19], v[18:19], 2.0, v[14:15] op_sel_hi:[1,0,1] neg_lo:[0,0,1] neg_hi:[0,0,1]
	v_mov_b32_e32 v23, v9
	v_pk_fma_f32 v[8:9], v[16:17], 2.0, v[22:23] op_sel_hi:[1,0,1] neg_lo:[0,0,1] neg_hi:[0,0,1]
	v_pk_add_f32 v[16:17], v[0:1], v[4:5] op_sel:[0,1] op_sel_hi:[1,0] neg_lo:[0,1] neg_hi:[0,1]
	v_pk_add_f32 v[4:5], v[0:1], v[4:5] op_sel:[0,1] op_sel_hi:[1,0]
	s_nop 0
	v_mov_b32_e32 v17, v5
	v_pk_fma_f32 v[0:1], v[0:1], 2.0, v[16:17] op_sel_hi:[1,0,1] neg_lo:[0,0,1] neg_hi:[0,0,1]
	v_pk_mul_f32 v[4:5], v[18:19], s[4:5] op_sel_hi:[1,0]
	v_pk_fma_f32 v[18:19], v[18:19], s[4:5], v[2:3] op_sel_hi:[1,0,1] neg_lo:[1,0,0] neg_hi:[1,0,0]
	s_nop 0
	v_pk_add_f32 v[48:49], v[18:19], v[4:5] op_sel:[0,1] op_sel_hi:[1,0] neg_lo:[0,1] neg_hi:[0,1]
	v_pk_add_f32 v[4:5], v[18:19], v[4:5] op_sel:[0,1] op_sel_hi:[1,0]
	v_pk_mul_f32 v[18:19], v[0:1], s[4:5] op_sel_hi:[1,0]
	v_pk_fma_f32 v[0:1], v[0:1], s[4:5], v[8:9] op_sel_hi:[1,0,1] neg_lo:[1,0,0] neg_hi:[1,0,0]
	v_mov_b32_e32 v49, v5
	v_pk_add_f32 v[56:57], v[0:1], v[18:19] op_sel:[0,1] op_sel_hi:[1,0] neg_lo:[0,1] neg_hi:[0,1]
	v_pk_add_f32 v[18:19], v[0:1], v[18:19] op_sel:[0,1] op_sel_hi:[1,0]
	v_pk_fma_f32 v[2:3], v[2:3], 2.0, v[48:49] op_sel_hi:[1,0,1] neg_lo:[0,0,1] neg_hi:[0,0,1]
	v_mov_b32_e32 v57, v19
	v_pk_fma_f32 v[0:1], v[8:9], 2.0, v[56:57] op_sel_hi:[1,0,1] neg_lo:[0,0,1] neg_hi:[0,0,1]
	s_nop 0
	v_pk_fma_f32 v[8:9], v[0:1], s[10:11], v[2:3] op_sel_hi:[1,0,1] neg_lo:[1,0,0] neg_hi:[1,0,0]
	v_pk_mul_f32 v[0:1], v[0:1], s[12:13] op_sel_hi:[1,0]
	s_nop 0
	v_pk_add_f32 v[58:59], v[8:9], v[0:1] op_sel:[0,1] op_sel_hi:[1,0] neg_lo:[0,1] neg_hi:[0,1]
	v_pk_add_f32 v[0:1], v[8:9], v[0:1] op_sel:[0,1] op_sel_hi:[1,0]
	s_nop 0
	v_mov_b32_e32 v59, v1
	v_pk_add_f32 v[0:1], v[28:29], v[32:33] neg_lo:[0,1] neg_hi:[0,1]
	v_pk_fma_f32 v[2:3], v[2:3], 2.0, v[58:59] op_sel_hi:[1,0,1] neg_lo:[0,0,1] neg_hi:[0,0,1]
	v_pk_fma_f32 v[8:9], v[28:29], 2.0, v[0:1] op_sel_hi:[1,0,1] neg_lo:[0,0,1] neg_hi:[0,0,1]
	v_pk_fma_f32 v[28:29], v[44:45], 2.0, v[10:11] op_sel:[0,0,1] op_sel_hi:[1,0,0] neg_lo:[0,0,1] neg_hi:[0,0,1]
	v_pk_add_f32 v[60:61], v[0:1], v[10:11] neg_lo:[0,1] neg_hi:[0,1]
	v_pk_add_f32 v[28:29], v[8:9], v[28:29] neg_lo:[0,1] neg_hi:[0,1]
	v_pk_add_f32 v[10:11], v[0:1], v[10:11]
	v_pk_fma_f32 v[8:9], v[8:9], 2.0, v[28:29] op_sel_hi:[1,0,1] neg_lo:[0,0,1] neg_hi:[0,0,1]
	v_mov_b32_e32 v61, v11
	v_pk_fma_f32 v[62:63], v[0:1], 2.0, v[60:61] op_sel_hi:[1,0,1] neg_lo:[0,0,1] neg_hi:[0,0,1]
	v_pk_add_f32 v[26:27], v[8:9], v[26:27] neg_lo:[0,1] neg_hi:[0,1]
	v_fmamk_f32 v1, v19, 0x3ec3ef15, v5
	v_pk_fma_f32 v[8:9], v[8:9], 2.0, v[26:27] op_sel_hi:[1,0,1] neg_lo:[0,0,1] neg_hi:[0,0,1]
	v_fmamk_f32 v0, v56, 0x3ec3ef15, v48
	v_fmac_f32_e32 v1, 0x3f6c835e, v56
	v_fmamk_f32 v0, v19, 0xbf6c835e, v0
	v_fma_f32 v19, v5, 2.0, -v1
	ds_write2_b64 v51, v[8:9], v[2:3] offset1:10
	v_pk_mul_f32 v[2:3], v[14:15], s[4:5] op_sel_hi:[1,0]
	v_pk_fma_f32 v[4:5], v[14:15], s[4:5], v[24:25] op_sel_hi:[1,0,1]
	v_pk_mul_f32 v[8:9], v[16:17], s[4:5] op_sel_hi:[1,0]
	v_pk_fma_f32 v[14:15], v[16:17], s[4:5], v[22:23] op_sel_hi:[1,0,1]
	v_pk_add_f32 v[10:11], v[4:5], v[2:3] op_sel:[0,1] op_sel_hi:[1,0] neg_lo:[0,1] neg_hi:[0,1]
	v_pk_add_f32 v[2:3], v[4:5], v[2:3] op_sel:[0,1] op_sel_hi:[1,0]
	v_pk_add_f32 v[16:17], v[14:15], v[8:9] op_sel:[0,1] op_sel_hi:[1,0] neg_lo:[0,1] neg_hi:[0,1]
	v_pk_add_f32 v[14:15], v[14:15], v[8:9] op_sel:[0,1] op_sel_hi:[1,0]
	v_mov_b32_e32 v11, v3
	v_mov_b32_e32 v17, v15
	v_pk_fma_f32 v[4:5], v[24:25], 2.0, v[10:11] op_sel_hi:[1,0,1] neg_lo:[0,0,1] neg_hi:[0,0,1]
	v_pk_fma_f32 v[8:9], v[22:23], 2.0, v[16:17] op_sel_hi:[1,0,1] neg_lo:[0,0,1] neg_hi:[0,0,1]
	v_fmamk_f32 v2, v16, 0x3f6c835e, v10
	v_pk_fma_f32 v[22:23], v[8:9], s[12:13], v[4:5] op_sel_hi:[1,0,1] neg_lo:[1,0,0] neg_hi:[1,0,0]
	v_pk_mul_f32 v[8:9], v[8:9], s[10:11] op_sel_hi:[1,0]
	v_pk_add_f32 v[44:45], v[28:29], v[46:47] op_sel:[0,1] op_sel_hi:[1,0] neg_lo:[0,1] neg_hi:[0,1]
	v_pk_add_f32 v[32:33], v[22:23], v[8:9] op_sel:[0,1] op_sel_hi:[1,0] neg_lo:[0,1] neg_hi:[0,1]
	v_pk_add_f32 v[8:9], v[22:23], v[8:9] op_sel:[0,1] op_sel_hi:[1,0]
	v_fma_f32 v18, v48, 2.0, -v0
	v_mov_b32_e32 v33, v9
	v_pk_fma_f32 v[22:23], v[4:5], 2.0, v[32:33] op_sel_hi:[1,0,1] neg_lo:[0,0,1] neg_hi:[0,0,1]
	v_fmamk_f32 v4, v15, 0xbec3ef15, v2
	v_fmamk_f32 v5, v15, 0x3f6c835e, v3
	v_fma_f32 v14, v10, 2.0, -v4
	v_pk_add_f32 v[10:11], v[28:29], v[46:47] op_sel:[0,1] op_sel_hi:[1,0]
	v_fmac_f32_e32 v5, 0x3ec3ef15, v16
	v_mov_b32_e32 v45, v11
	v_fma_f32 v15, v3, 2.0, -v5
	v_pk_fma_f32 v[2:3], v[28:29], 2.0, v[44:45] op_sel_hi:[1,0,1] neg_lo:[0,0,1] neg_hi:[0,0,1]
	ds_write2_b64 v51, v[2:3], v[18:19] offset0:40 offset1:50
	v_pk_add_f32 v[2:3], v[20:21], v[12:13] op_sel:[0,1] op_sel_hi:[1,0] neg_lo:[0,1] neg_hi:[0,1]
	v_pk_add_f32 v[12:13], v[20:21], v[12:13] op_sel:[0,1] op_sel_hi:[1,0]
	s_nop 0
	v_mov_b32_e32 v3, v13
	v_pk_fma_f32 v[12:13], v[20:21], 2.0, v[2:3] op_sel_hi:[1,0,1] neg_lo:[0,0,1] neg_hi:[0,0,1]
	v_pk_mul_f32 v[18:19], v[2:3], s[4:5] op_sel_hi:[1,0]
	v_pk_mul_f32 v[16:17], v[12:13], s[4:5] op_sel_hi:[1,0]
	v_pk_fma_f32 v[12:13], v[12:13], s[4:5], v[62:63] op_sel_hi:[1,0,1] neg_lo:[1,0,0] neg_hi:[1,0,0]
	v_pk_fma_f32 v[2:3], v[2:3], s[4:5], v[60:61] op_sel_hi:[1,0,1]
	v_pk_add_f32 v[28:29], v[12:13], v[16:17] op_sel:[0,1] op_sel_hi:[1,0] neg_lo:[0,1] neg_hi:[0,1]
	v_pk_add_f32 v[48:49], v[12:13], v[16:17] op_sel:[0,1] op_sel_hi:[1,0]
	v_pk_add_f32 v[46:47], v[2:3], v[18:19] op_sel:[0,1] op_sel_hi:[1,0] neg_lo:[0,1] neg_hi:[0,1]
	v_mov_b32_e32 v29, v49
	v_pk_add_f32 v[2:3], v[2:3], v[18:19] op_sel:[0,1] op_sel_hi:[1,0]
	v_pk_fma_f32 v[16:17], v[62:63], 2.0, v[28:29] op_sel_hi:[1,0,1] neg_lo:[0,0,1] neg_hi:[0,0,1]
	v_mov_b32_e32 v47, v3
	v_add_u32_e32 v2, 0x400, v41
	v_pk_fma_f32 v[12:13], v[60:61], 2.0, v[46:47] op_sel_hi:[1,0,1] neg_lo:[0,0,1] neg_hi:[0,0,1]
	ds_write2_b64 v51, v[16:17], v[22:23] offset0:20 offset1:30
	ds_write2_b64 v51, v[12:13], v[14:15] offset0:60 offset1:70
	;; [unrolled: 1-line block ×6, first 2 shown]
	s_waitcnt lgkmcnt(0)
	s_barrier
	ds_read2_b64 v[20:23], v2 offset0:32 offset1:192
	v_add_u32_e32 v2, 0xe00, v41
	ds_read2_b64 v[24:27], v2 offset0:32 offset1:192
	ds_read2_b64 v[12:15], v52 offset0:32 offset1:192
	v_add_u32_e32 v2, 0x2200, v41
	ds_read2_b64 v[16:19], v2 offset0:32 offset1:192
	ds_read_b64 v[50:51], v50
	ds_read_b64 v[52:53], v41 offset:11520
	s_and_saveexec_b64 s[4:5], vcc
	s_cbranch_execz .LBB0_23
; %bb.22:
	v_add_u32_e32 v0, 0x800, v41
	ds_read2_b64 v[8:11], v0 offset0:4 offset1:164
	v_add_u32_e32 v0, 0x1000, v41
	ds_read2_b64 v[0:3], v0 offset0:68 offset1:228
	v_add_u32_e32 v4, 0x1c00, v41
	v_add_u32_e32 v28, 0x2400, v41
	ds_read2_b64 v[4:7], v4 offset0:4 offset1:164
	ds_read2_b64 v[56:59], v28 offset0:68 offset1:228
	ds_read_b64 v[28:29], v55 offset:800
	ds_read_b64 v[30:31], v41 offset:12320
	s_waitcnt lgkmcnt(5)
	v_mov_b32_e32 v32, v8
	v_mov_b32_e32 v44, v10
	s_waitcnt lgkmcnt(4)
	v_mov_b32_e32 v46, v2
	s_waitcnt lgkmcnt(2)
	v_mov_b64_e32 v[42:43], v[58:59]
	v_mov_b64_e32 v[34:35], v[56:57]
	s_waitcnt lgkmcnt(1)
	v_mov_b32_e32 v49, v29
.LBB0_23:
	s_or_b64 exec, exec, s[4:5]
	v_mul_u32_u24_e32 v2, 9, v40
	v_lshlrev_b32_e32 v2, 3, v2
	global_load_dwordx4 v[56:59], v2, s[8:9] offset:1200
	global_load_dwordx4 v[60:63], v2, s[8:9] offset:1216
	;; [unrolled: 1-line block ×4, first 2 shown]
	global_load_dwordx2 v[72:73], v2, s[8:9] offset:1264
	s_mov_b32 s10, 0xbf737871
	s_mov_b32 s11, 0x3f737871
	;; [unrolled: 1-line block ×8, first 2 shown]
	s_waitcnt lgkmcnt(0)
	s_barrier
	v_add_u32_e32 v2, 0x800, v41
	s_waitcnt vmcnt(4)
	v_pk_mul_f32 v[74:75], v[56:57], v[20:21] op_sel:[0,1]
	v_pk_mul_f32 v[76:77], v[58:59], v[22:23] op_sel:[0,1]
	s_waitcnt vmcnt(3)
	v_pk_mul_f32 v[78:79], v[60:61], v[24:25] op_sel:[0,1]
	v_pk_mul_f32 v[80:81], v[62:63], v[26:27] op_sel:[0,1]
	;; [unrolled: 3-line block ×4, first 2 shown]
	s_waitcnt vmcnt(0)
	v_pk_mul_f32 v[90:91], v[52:53], v[72:73] op_sel:[0,1]
	v_pk_fma_f32 v[92:93], v[56:57], v[20:21], v[74:75] op_sel:[0,0,1] op_sel_hi:[1,1,0] neg_lo:[0,0,1] neg_hi:[0,0,1]
	v_pk_fma_f32 v[20:21], v[56:57], v[20:21], v[74:75] op_sel:[0,0,1] op_sel_hi:[1,0,0]
	v_pk_fma_f32 v[56:57], v[58:59], v[22:23], v[76:77] op_sel:[0,0,1] op_sel_hi:[1,1,0] neg_lo:[0,0,1] neg_hi:[0,0,1]
	v_pk_fma_f32 v[22:23], v[58:59], v[22:23], v[76:77] op_sel:[0,0,1] op_sel_hi:[1,0,0]
	;; [unrolled: 2-line block ×9, first 2 shown]
	v_mov_b32_e32 v57, v23
	v_mov_b32_e32 v59, v25
	v_mov_b32_e32 v61, v27
	v_mov_b32_e32 v63, v13
	v_mov_b32_e32 v65, v15
	v_mov_b32_e32 v67, v17
	v_mov_b32_e32 v69, v19
	v_mov_b32_e32 v71, v53
	v_mov_b32_e32 v93, v21
	v_pk_add_f32 v[16:17], v[60:61], v[64:65]
	v_pk_add_f32 v[18:19], v[56:57], v[68:69] neg_lo:[0,1] neg_hi:[0,1]
	v_pk_add_f32 v[22:23], v[56:57], v[60:61] neg_lo:[0,1] neg_hi:[0,1]
	;; [unrolled: 1-line block ×3, first 2 shown]
	v_pk_add_f32 v[26:27], v[62:63], v[66:67]
	v_pk_add_f32 v[52:53], v[58:59], v[70:71] neg_lo:[0,1] neg_hi:[0,1]
	v_pk_add_f32 v[20:21], v[60:61], v[64:65] neg_lo:[0,1] neg_hi:[0,1]
	v_pk_add_f32 v[72:73], v[62:63], v[66:67] neg_lo:[0,1] neg_hi:[0,1]
	v_pk_add_f32 v[74:75], v[58:59], v[62:63] neg_lo:[0,1] neg_hi:[0,1]
	v_pk_add_f32 v[76:77], v[70:71], v[66:67] neg_lo:[0,1] neg_hi:[0,1]
	v_pk_fma_f32 v[16:17], v[16:17], 0.5, v[50:51] op_sel_hi:[1,0,1] neg_lo:[1,0,0] neg_hi:[1,0,0]
	v_pk_mul_f32 v[78:79], v[18:19], s[16:17] op_sel_hi:[1,0]
	v_pk_add_f32 v[22:23], v[22:23], v[24:25]
	v_pk_fma_f32 v[24:25], v[26:27], 0.5, v[92:93] op_sel_hi:[1,0,1] neg_lo:[1,0,0] neg_hi:[1,0,0]
	v_pk_mul_f32 v[26:27], v[52:53], s[16:17] op_sel_hi:[1,0]
	v_pk_mul_f32 v[80:81], v[20:21], s[18:19] op_sel_hi:[1,0]
	;; [unrolled: 1-line block ×3, first 2 shown]
	v_pk_add_f32 v[74:75], v[74:75], v[76:77]
	v_pk_add_f32 v[76:77], v[16:17], v[78:79] op_sel:[0,1] op_sel_hi:[1,0]
	v_pk_add_f32 v[16:17], v[16:17], v[78:79] op_sel:[0,1] op_sel_hi:[1,0] neg_lo:[0,1] neg_hi:[0,1]
	v_pk_add_f32 v[78:79], v[24:25], v[26:27] op_sel:[0,1] op_sel_hi:[1,0]
	v_pk_add_f32 v[24:25], v[24:25], v[26:27] op_sel:[0,1] op_sel_hi:[1,0] neg_lo:[0,1] neg_hi:[0,1]
	;; [unrolled: 2-line block ×3, first 2 shown]
	v_pk_add_f32 v[76:77], v[78:79], v[82:83] op_sel:[0,1] op_sel_hi:[1,0]
	v_mov_b32_e32 v83, v25
	v_mov_b32_e32 v82, v76
	v_pk_add_f32 v[12:13], v[50:51], v[56:57]
	v_pk_add_f32 v[14:15], v[92:93], v[58:59]
	v_pk_fma_f32 v[82:83], v[74:75], s[12:13], v[82:83] op_sel_hi:[1,0,1]
	v_pk_add_f32 v[12:13], v[12:13], v[60:61]
	v_pk_add_f32 v[14:15], v[14:15], v[62:63]
	v_pk_add_f32 v[16:17], v[16:17], v[80:81] op_sel:[0,1] op_sel_hi:[1,0] neg_lo:[0,1] neg_hi:[0,1]
	v_pk_mul_f32 v[84:85], v[82:83], s[18:19] op_sel_hi:[1,0]
	v_pk_add_f32 v[12:13], v[12:13], v[64:65]
	v_pk_add_f32 v[14:15], v[14:15], v[66:67]
	v_mov_b32_e32 v80, v26
	v_mov_b32_e32 v81, v17
	v_pk_fma_f32 v[86:87], v[82:83], s[14:15], v[84:85] op_sel:[0,0,1] op_sel_hi:[1,0,0]
	v_pk_fma_f32 v[82:83], v[82:83], s[14:15], v[84:85] op_sel:[0,0,1] op_sel_hi:[1,0,0] neg_lo:[0,0,1] neg_hi:[0,0,1]
	v_pk_add_f32 v[12:13], v[12:13], v[68:69]
	v_pk_add_f32 v[14:15], v[14:15], v[70:71]
	v_pk_fma_f32 v[80:81], v[22:23], s[12:13], v[80:81] op_sel_hi:[1,0,1]
	v_mov_b32_e32 v87, v83
	v_pk_add_f32 v[78:79], v[12:13], v[14:15]
	v_pk_add_f32 v[82:83], v[80:81], v[86:87]
	ds_write2_b64 v41, v[78:79], v[82:83] offset1:160
	v_pk_add_f32 v[78:79], v[56:57], v[68:69]
	v_pk_add_f32 v[56:57], v[60:61], v[56:57] neg_lo:[0,1] neg_hi:[0,1]
	v_pk_add_f32 v[60:61], v[64:65], v[68:69] neg_lo:[0,1] neg_hi:[0,1]
	v_pk_fma_f32 v[50:51], v[78:79], 0.5, v[50:51] op_sel_hi:[1,0,1] neg_lo:[1,0,0] neg_hi:[1,0,0]
	v_pk_add_f32 v[56:57], v[56:57], v[60:61]
	v_pk_add_f32 v[60:61], v[58:59], v[70:71]
	v_pk_add_f32 v[58:59], v[62:63], v[58:59] neg_lo:[0,1] neg_hi:[0,1]
	v_pk_add_f32 v[62:63], v[66:67], v[70:71] neg_lo:[0,1] neg_hi:[0,1]
	v_pk_mul_f32 v[20:21], v[20:21], s[16:17] op_sel_hi:[1,0]
	v_pk_add_f32 v[58:59], v[58:59], v[62:63]
	v_pk_mul_f32 v[18:19], v[18:19], s[18:19] op_sel_hi:[1,0]
	v_pk_add_f32 v[62:63], v[50:51], v[20:21] op_sel:[0,1] op_sel_hi:[1,0] neg_lo:[0,1] neg_hi:[0,1]
	v_pk_add_f32 v[20:21], v[50:51], v[20:21] op_sel:[0,1] op_sel_hi:[1,0]
	v_pk_fma_f32 v[60:61], v[60:61], 0.5, v[92:93] op_sel_hi:[1,0,1] neg_lo:[1,0,0] neg_hi:[1,0,0]
	v_pk_add_f32 v[20:21], v[20:21], v[18:19] op_sel:[0,1] op_sel_hi:[1,0] neg_lo:[0,1] neg_hi:[0,1]
	v_pk_add_f32 v[18:19], v[62:63], v[18:19] op_sel:[0,1] op_sel_hi:[1,0]
	v_pk_mul_f32 v[62:63], v[72:73], s[16:17] op_sel_hi:[1,0]
	v_pk_mul_f32 v[52:53], v[52:53], s[18:19] op_sel_hi:[1,0]
	v_pk_add_f32 v[64:65], v[60:61], v[62:63] op_sel:[0,1] op_sel_hi:[1,0] neg_lo:[0,1] neg_hi:[0,1]
	v_pk_add_f32 v[60:61], v[60:61], v[62:63] op_sel:[0,1] op_sel_hi:[1,0]
	v_mov_b32_e32 v51, v21
	v_pk_add_f32 v[60:61], v[60:61], v[52:53] op_sel:[0,1] op_sel_hi:[1,0] neg_lo:[0,1] neg_hi:[0,1]
	v_pk_add_f32 v[52:53], v[64:65], v[52:53] op_sel:[0,1] op_sel_hi:[1,0]
	v_mov_b32_e32 v63, v61
	v_mov_b32_e32 v62, v52
	v_pk_fma_f32 v[62:63], v[58:59], s[12:13], v[62:63] op_sel_hi:[1,0,1]
	v_mov_b32_e32 v21, v19
	v_mov_b32_e32 v61, v53
	v_mov_b32_e32 v50, v18
	v_pk_mul_f32 v[64:65], v[62:63], s[16:17] op_sel_hi:[1,0]
	v_pk_fma_f32 v[18:19], v[56:57], s[12:13], v[20:21] op_sel_hi:[1,0,1]
	v_pk_fma_f32 v[20:21], v[58:59], s[12:13], v[60:61] op_sel_hi:[1,0,1]
	v_mov_b32_e32 v17, v27
	v_mov_b32_e32 v25, v77
	v_pk_fma_f32 v[66:67], v[62:63], s[12:13], v[64:65] op_sel:[0,0,1] op_sel_hi:[1,0,0]
	v_pk_fma_f32 v[62:63], v[62:63], s[12:13], v[64:65] op_sel:[0,0,1] op_sel_hi:[1,0,0] neg_lo:[0,0,1] neg_hi:[0,0,1]
	v_pk_mul_f32 v[52:53], v[20:21], s[12:13] op_sel_hi:[1,0]
	v_pk_fma_f32 v[16:17], v[22:23], s[12:13], v[16:17] op_sel_hi:[1,0,1]
	v_pk_fma_f32 v[22:23], v[74:75], s[12:13], v[24:25] op_sel_hi:[1,0,1]
	;; [unrolled: 1-line block ×3, first 2 shown]
	v_mov_b32_e32 v67, v63
	v_pk_fma_f32 v[20:21], v[20:21], s[10:11], v[52:53] op_sel:[0,0,1] op_sel_hi:[1,1,0] neg_lo:[0,0,1] neg_hi:[0,0,1]
	v_pk_mul_f32 v[24:25], v[22:23], s[14:15] op_sel_hi:[1,0]
	v_pk_add_f32 v[62:63], v[50:51], v[66:67]
	v_pk_add_f32 v[52:53], v[18:19], v[20:21] op_sel:[0,1] op_sel_hi:[1,0]
	v_pk_fma_f32 v[22:23], v[22:23], s[4:5], v[24:25] op_sel:[0,0,1] op_sel_hi:[1,1,0] neg_lo:[0,0,1] neg_hi:[0,0,1]
	ds_write2_b64 v2, v[62:63], v[52:53] offset0:64 offset1:224
	v_pk_add_f32 v[24:25], v[16:17], v[22:23] op_sel:[0,1] op_sel_hi:[1,0]
	v_pk_add_f32 v[12:13], v[12:13], v[14:15] neg_lo:[0,1] neg_hi:[0,1]
	v_add_u32_e32 v2, 0x1400, v41
	ds_write2_b64 v2, v[24:25], v[12:13] offset1:160
	v_pk_add_f32 v[12:13], v[80:81], v[86:87] neg_lo:[0,1] neg_hi:[0,1]
	v_pk_add_f32 v[14:15], v[50:51], v[66:67] neg_lo:[0,1] neg_hi:[0,1]
	v_add_u32_e32 v2, 0x1c00, v41
	ds_write2_b64 v2, v[12:13], v[14:15] offset0:64 offset1:224
	v_pk_add_f32 v[12:13], v[18:19], v[20:21] op_sel:[0,1] op_sel_hi:[1,0] neg_lo:[0,1] neg_hi:[0,1]
	v_pk_add_f32 v[14:15], v[16:17], v[22:23] op_sel:[0,1] op_sel_hi:[1,0] neg_lo:[0,1] neg_hi:[0,1]
	v_add_u32_e32 v2, 0x2800, v41
	ds_write2_b64 v2, v[12:13], v[14:15] offset1:160
	s_and_saveexec_b64 s[16:17], vcc
	s_cbranch_execz .LBB0_25
; %bb.24:
	v_add_u32_e32 v2, 0x64, v40
	v_subrev_u32_e32 v8, 60, v40
	v_cndmask_b32_e32 v2, v8, v2, vcc
	v_mul_i32_i24_e32 v12, 9, v2
	v_mov_b32_e32 v13, 0
	v_lshl_add_u64 v[50:51], v[12:13], 3, s[8:9]
	global_load_dwordx4 v[12:15], v[50:51], off offset:1200
	global_load_dwordx4 v[16:19], v[50:51], off offset:1216
	;; [unrolled: 1-line block ×4, first 2 shown]
	global_load_dwordx2 v[52:53], v[50:51], off offset:1264
	v_mov_b32_e32 v2, v11
	v_mov_b32_e32 v8, v3
	;; [unrolled: 1-line block ×6, first 2 shown]
	s_mov_b32 s8, s11
	s_mov_b32 s18, s5
	s_waitcnt vmcnt(4)
	v_pk_mul_f32 v[2:3], v[2:3], v[14:15] op_sel_hi:[0,1]
	s_waitcnt vmcnt(3)
	v_pk_mul_f32 v[8:9], v[8:9], v[18:19] op_sel_hi:[0,1]
	s_waitcnt vmcnt(2)
	v_pk_mul_f32 v[56:57], v[42:43], v[22:23] op_sel:[1,0]
	s_waitcnt vmcnt(1)
	v_pk_mul_f32 v[58:59], v[6:7], v[26:27] op_sel:[1,0]
	v_pk_mul_f32 v[10:11], v[10:11], v[16:17] op_sel_hi:[0,1]
	v_pk_mul_f32 v[48:49], v[48:49], v[24:25] op_sel_hi:[0,1]
	s_waitcnt vmcnt(0)
	v_pk_mul_f32 v[60:61], v[30:31], v[52:53] op_sel:[1,0]
	v_pk_mul_f32 v[62:63], v[34:35], v[20:21] op_sel:[1,0]
	v_pk_mul_f32 v[50:51], v[50:51], v[12:13] op_sel_hi:[0,1]
	v_pk_fma_f32 v[64:65], v[46:47], v[18:19], v[8:9] op_sel:[0,0,1] op_sel_hi:[1,1,0] neg_lo:[0,0,1] neg_hi:[0,0,1]
	v_pk_fma_f32 v[8:9], v[46:47], v[18:19], v[8:9] op_sel:[0,0,1] op_sel_hi:[0,1,0]
	v_pk_fma_f32 v[18:19], v[44:45], v[14:15], v[2:3] op_sel:[0,0,1] op_sel_hi:[1,1,0] neg_lo:[0,0,1] neg_hi:[0,0,1]
	v_pk_fma_f32 v[2:3], v[44:45], v[14:15], v[2:3] op_sel:[0,0,1] op_sel_hi:[0,1,0]
	;; [unrolled: 2-line block ×9, first 2 shown]
	v_mov_b32_e32 v43, v1
	v_mov_b32_e32 v35, v13
	;; [unrolled: 1-line block ×4, first 2 shown]
	v_pk_add_f32 v[2:3], v[34:35], v[42:43]
	v_mov_b32_e32 v65, v9
	v_mov_b32_e32 v15, v7
	;; [unrolled: 1-line block ×5, first 2 shown]
	v_pk_add_f32 v[0:1], v[28:29], v[18:19]
	v_pk_add_f32 v[2:3], v[2:3], v[10:11]
	v_pk_add_f32 v[12:13], v[18:19], v[64:65] neg_lo:[0,1] neg_hi:[0,1]
	v_pk_add_f32 v[20:21], v[26:27], v[14:15] neg_lo:[0,1] neg_hi:[0,1]
	;; [unrolled: 1-line block ×3, first 2 shown]
	v_pk_add_f32 v[24:25], v[10:11], v[30:31]
	v_pk_add_f32 v[0:1], v[0:1], v[64:65]
	;; [unrolled: 1-line block ×4, first 2 shown]
	v_pk_add_f32 v[6:7], v[18:19], v[26:27] neg_lo:[0,1] neg_hi:[0,1]
	v_pk_add_f32 v[32:33], v[10:11], v[30:31] neg_lo:[0,1] neg_hi:[0,1]
	;; [unrolled: 1-line block ×4, first 2 shown]
	v_pk_add_f32 v[12:13], v[12:13], v[20:21]
	v_pk_mul_f32 v[20:21], v[22:23], s[8:9] op_sel_hi:[1,0]
	v_pk_fma_f32 v[24:25], v[24:25], 0.5, v[34:35] op_sel_hi:[1,0,1] neg_lo:[1,0,0] neg_hi:[1,0,0]
	v_pk_add_f32 v[0:1], v[0:1], v[14:15]
	v_pk_add_f32 v[2:3], v[2:3], v[16:17]
	v_pk_add_f32 v[10:11], v[10:11], v[42:43] neg_lo:[0,1] neg_hi:[0,1]
	v_pk_add_f32 v[30:31], v[30:31], v[16:17] neg_lo:[0,1] neg_hi:[0,1]
	v_pk_add_f32 v[16:17], v[42:43], v[16:17]
	v_pk_add_f32 v[8:9], v[64:65], v[14:15] neg_lo:[0,1] neg_hi:[0,1]
	v_pk_fma_f32 v[4:5], v[4:5], 0.5, v[28:29] op_sel_hi:[1,0,1] neg_lo:[1,0,0] neg_hi:[1,0,0]
	v_pk_mul_f32 v[48:49], v[6:7], s[8:9] op_sel_hi:[1,0]
	v_pk_mul_f32 v[52:53], v[32:33], s[18:19] op_sel_hi:[1,0]
	v_pk_add_f32 v[44:45], v[44:45], v[46:47]
	v_pk_add_f32 v[46:47], v[24:25], v[20:21] op_sel:[0,1] op_sel_hi:[1,0]
	v_pk_add_f32 v[20:21], v[24:25], v[20:21] op_sel:[0,1] op_sel_hi:[1,0] neg_lo:[0,1] neg_hi:[0,1]
	v_pk_add_f32 v[0:1], v[0:1], v[26:27]
	v_pk_add_f32 v[10:11], v[10:11], v[30:31]
	v_pk_fma_f32 v[16:17], v[16:17], 0.5, v[34:35] op_sel_hi:[1,0,1] neg_lo:[1,0,0] neg_hi:[1,0,0]
	v_pk_add_f32 v[30:31], v[64:65], v[18:19] neg_lo:[0,1] neg_hi:[0,1]
	v_pk_add_f32 v[14:15], v[14:15], v[26:27] neg_lo:[0,1] neg_hi:[0,1]
	v_pk_add_f32 v[18:19], v[18:19], v[26:27]
	v_pk_mul_f32 v[26:27], v[32:33], s[8:9] op_sel_hi:[1,0]
	v_pk_mul_f32 v[50:51], v[8:9], s[18:19] op_sel_hi:[1,0]
	v_pk_add_f32 v[24:25], v[4:5], v[48:49] op_sel:[0,1] op_sel_hi:[1,0]
	v_pk_add_f32 v[4:5], v[4:5], v[48:49] op_sel:[0,1] op_sel_hi:[1,0] neg_lo:[0,1] neg_hi:[0,1]
	v_pk_add_f32 v[20:21], v[20:21], v[52:53] op_sel:[0,1] op_sel_hi:[1,0] neg_lo:[0,1] neg_hi:[0,1]
	v_pk_add_f32 v[46:47], v[46:47], v[52:53] op_sel:[0,1] op_sel_hi:[1,0]
	v_pk_fma_f32 v[18:19], v[18:19], 0.5, v[28:29] op_sel_hi:[1,0,1] neg_lo:[1,0,0] neg_hi:[1,0,0]
	v_pk_mul_f32 v[22:23], v[22:23], s[18:19] op_sel_hi:[1,0]
	v_pk_add_f32 v[28:29], v[16:17], v[26:27] op_sel:[0,1] op_sel_hi:[1,0] neg_lo:[0,1] neg_hi:[0,1]
	v_pk_add_f32 v[16:17], v[16:17], v[26:27] op_sel:[0,1] op_sel_hi:[1,0]
	v_pk_add_f32 v[4:5], v[4:5], v[50:51] op_sel:[0,1] op_sel_hi:[1,0] neg_lo:[0,1] neg_hi:[0,1]
	v_pk_add_f32 v[24:25], v[24:25], v[50:51] op_sel:[0,1] op_sel_hi:[1,0]
	v_mov_b32_e32 v50, v46
	v_mov_b32_e32 v51, v21
	v_pk_mul_f32 v[8:9], v[8:9], s[8:9] op_sel_hi:[1,0]
	v_pk_add_f32 v[16:17], v[16:17], v[22:23] op_sel:[0,1] op_sel_hi:[1,0] neg_lo:[0,1] neg_hi:[0,1]
	v_pk_add_f32 v[22:23], v[28:29], v[22:23] op_sel:[0,1] op_sel_hi:[1,0]
	v_pk_fma_f32 v[50:51], v[44:45], s[12:13], v[50:51] op_sel_hi:[1,0,1]
	v_pk_mul_f32 v[6:7], v[6:7], s[18:19] op_sel_hi:[1,0]
	v_mov_b32_e32 v26, v22
	v_mov_b32_e32 v27, v17
	v_pk_add_f32 v[28:29], v[18:19], v[8:9] op_sel:[0,1] op_sel_hi:[1,0] neg_lo:[0,1] neg_hi:[0,1]
	v_pk_add_f32 v[8:9], v[18:19], v[8:9] op_sel:[0,1] op_sel_hi:[1,0]
	v_pk_mul_f32 v[56:57], v[50:51], s[18:19] op_sel_hi:[1,0]
	v_pk_fma_f32 v[26:27], v[10:11], s[12:13], v[26:27] op_sel_hi:[1,0,1]
	v_pk_add_f32 v[8:9], v[8:9], v[6:7] op_sel:[0,1] op_sel_hi:[1,0] neg_lo:[0,1] neg_hi:[0,1]
	v_pk_add_f32 v[6:7], v[28:29], v[6:7] op_sel:[0,1] op_sel_hi:[1,0]
	v_mov_b32_e32 v17, v23
	v_mov_b32_e32 v52, v24
	;; [unrolled: 1-line block ×3, first 2 shown]
	v_pk_fma_f32 v[58:59], v[50:51], s[14:15], v[56:57] op_sel:[0,0,1] op_sel_hi:[1,0,0]
	v_pk_fma_f32 v[50:51], v[50:51], s[14:15], v[56:57] op_sel:[0,0,1] op_sel_hi:[1,0,0] neg_lo:[0,0,1] neg_hi:[0,0,1]
	v_pk_add_f32 v[14:15], v[30:31], v[14:15]
	v_mov_b32_e32 v19, v9
	v_pk_mul_f32 v[28:29], v[26:27], s[8:9] op_sel_hi:[1,0]
	v_pk_fma_f32 v[10:11], v[10:11], s[12:13], v[16:17] op_sel_hi:[1,0,1]
	v_mov_b32_e32 v9, v7
	v_pk_fma_f32 v[52:53], v[12:13], s[12:13], v[52:53] op_sel_hi:[1,0,1]
	v_mov_b32_e32 v59, v51
	v_mov_b32_e32 v18, v6
	v_pk_fma_f32 v[30:31], v[26:27], s[12:13], v[28:29] op_sel:[0,0,1] op_sel_hi:[1,0,0]
	v_pk_fma_f32 v[26:27], v[26:27], s[12:13], v[28:29] op_sel:[0,0,1] op_sel_hi:[1,0,0] neg_lo:[0,0,1] neg_hi:[0,0,1]
	v_pk_fma_f32 v[6:7], v[14:15], s[12:13], v[8:9] op_sel_hi:[1,0,1]
	v_pk_mul_f32 v[8:9], v[10:11], s[12:13] op_sel_hi:[1,0]
	v_pk_add_f32 v[48:49], v[0:1], v[2:3]
	v_pk_add_f32 v[50:51], v[52:53], v[58:59]
	v_add_u32_e32 v5, 0x200, v41
	v_pk_fma_f32 v[18:19], v[14:15], s[12:13], v[18:19] op_sel_hi:[1,0,1]
	v_mov_b32_e32 v31, v27
	v_pk_fma_f32 v[8:9], v[10:11], s[10:11], v[8:9] op_sel:[0,0,1] op_sel_hi:[1,1,0] neg_lo:[0,0,1] neg_hi:[0,0,1]
	ds_write2_b64 v5, v[48:49], v[50:51] offset0:36 offset1:196
	v_pk_add_f32 v[26:27], v[18:19], v[30:31]
	v_pk_add_f32 v[10:11], v[6:7], v[8:9] op_sel:[0,1] op_sel_hi:[1,0]
	v_add_u32_e32 v5, 0xc00, v41
	v_mov_b32_e32 v21, v47
	ds_write2_b64 v5, v[26:27], v[10:11] offset0:36 offset1:196
	v_pk_fma_f32 v[10:11], v[44:45], s[12:13], v[20:21] op_sel_hi:[1,0,1]
	v_mov_b32_e32 v5, v25
	v_pk_fma_f32 v[4:5], v[12:13], s[12:13], v[4:5] op_sel_hi:[1,0,1]
	v_pk_mul_f32 v[12:13], v[10:11], s[14:15] op_sel_hi:[1,0]
	v_pk_add_f32 v[0:1], v[0:1], v[2:3] neg_lo:[0,1] neg_hi:[0,1]
	v_pk_fma_f32 v[10:11], v[10:11], s[4:5], v[12:13] op_sel:[0,0,1] op_sel_hi:[1,1,0] neg_lo:[0,0,1] neg_hi:[0,0,1]
	v_add_u32_e32 v2, 0x1600, v41
	v_pk_add_f32 v[12:13], v[4:5], v[10:11] op_sel:[0,1] op_sel_hi:[1,0]
	ds_write2_b64 v2, v[12:13], v[0:1] offset0:36 offset1:196
	v_pk_add_f32 v[0:1], v[52:53], v[58:59] neg_lo:[0,1] neg_hi:[0,1]
	v_pk_add_f32 v[2:3], v[18:19], v[30:31] neg_lo:[0,1] neg_hi:[0,1]
	v_add_u32_e32 v12, 0x2000, v41
	ds_write2_b64 v12, v[0:1], v[2:3] offset0:36 offset1:196
	v_pk_add_f32 v[0:1], v[6:7], v[8:9] op_sel:[0,1] op_sel_hi:[1,0] neg_lo:[0,1] neg_hi:[0,1]
	v_pk_add_f32 v[2:3], v[4:5], v[10:11] op_sel:[0,1] op_sel_hi:[1,0] neg_lo:[0,1] neg_hi:[0,1]
	v_add_u32_e32 v4, 0x2a00, v41
	ds_write2_b64 v4, v[0:1], v[2:3] offset0:36 offset1:196
.LBB0_25:
	s_or_b64 exec, exec, s[16:17]
	s_waitcnt lgkmcnt(0)
	s_barrier
	s_and_saveexec_b64 s[4:5], s[0:1]
	s_cbranch_execz .LBB0_27
; %bb.26:
	v_mul_lo_u32 v0, s3, v38
	v_mul_lo_u32 v1, s2, v39
	v_mad_u64_u32 v[4:5], s[0:1], s2, v38, 0
	v_lshl_add_u32 v10, v40, 3, v54
	v_add3_u32 v5, v5, v1, v0
	ds_read2_b64 v[0:3], v10 offset1:100
	v_lshl_add_u64 v[4:5], v[4:5], 3, s[6:7]
	v_mov_b32_e32 v41, 0
	v_lshl_add_u64 v[8:9], v[36:37], 3, v[4:5]
	v_lshl_add_u64 v[4:5], v[40:41], 3, v[8:9]
	s_waitcnt lgkmcnt(0)
	global_store_dwordx2 v[4:5], v[0:1], off
	v_add_u32_e32 v4, 0x400, v10
	ds_read2_b64 v[4:7], v4 offset0:72 offset1:172
	v_add_u32_e32 v0, 0x64, v40
	v_mov_b32_e32 v1, v41
	v_lshl_add_u64 v[0:1], v[0:1], 3, v[8:9]
	global_store_dwordx2 v[0:1], v[2:3], off
	v_add_u32_e32 v0, 0xc8, v40
	v_mov_b32_e32 v1, v41
	v_lshl_add_u64 v[0:1], v[0:1], 3, v[8:9]
	s_waitcnt lgkmcnt(0)
	global_store_dwordx2 v[0:1], v[4:5], off
	v_add_u32_e32 v0, 0x12c, v40
	v_mov_b32_e32 v1, v41
	v_lshl_add_u64 v[4:5], v[0:1], 3, v[8:9]
	v_add_u32_e32 v0, 0x800, v10
	ds_read2_b64 v[0:3], v0 offset0:144 offset1:244
	global_store_dwordx2 v[4:5], v[6:7], off
	v_add_u32_e32 v4, 0x190, v40
	v_mov_b32_e32 v5, v41
	v_lshl_add_u64 v[4:5], v[4:5], 3, v[8:9]
	s_waitcnt lgkmcnt(0)
	global_store_dwordx2 v[4:5], v[0:1], off
	v_add_u32_e32 v4, 0x1000, v10
	ds_read2_b64 v[4:7], v4 offset0:88 offset1:188
	v_add_u32_e32 v0, 0x1f4, v40
	v_mov_b32_e32 v1, v41
	v_lshl_add_u64 v[0:1], v[0:1], 3, v[8:9]
	global_store_dwordx2 v[0:1], v[2:3], off
	v_add_u32_e32 v0, 0x258, v40
	v_mov_b32_e32 v1, v41
	v_lshl_add_u64 v[0:1], v[0:1], 3, v[8:9]
	s_waitcnt lgkmcnt(0)
	global_store_dwordx2 v[0:1], v[4:5], off
	v_add_u32_e32 v0, 0x2bc, v40
	v_mov_b32_e32 v1, v41
	v_lshl_add_u64 v[4:5], v[0:1], 3, v[8:9]
	v_add_u32_e32 v0, 0x1800, v10
	ds_read2_b64 v[0:3], v0 offset0:32 offset1:132
	global_store_dwordx2 v[4:5], v[6:7], off
	v_add_u32_e32 v4, 0x320, v40
	v_mov_b32_e32 v5, v41
	;; [unrolled: 22-line block ×3, first 2 shown]
	v_lshl_add_u64 v[4:5], v[4:5], 3, v[8:9]
	s_waitcnt lgkmcnt(0)
	global_store_dwordx2 v[4:5], v[0:1], off
	v_add_u32_e32 v4, 0x2800, v10
	ds_read2_b64 v[4:7], v4 offset0:120 offset1:220
	v_add_u32_e32 v0, 0x514, v40
	v_mov_b32_e32 v1, v41
	v_lshl_add_u64 v[0:1], v[0:1], 3, v[8:9]
	global_store_dwordx2 v[0:1], v[2:3], off
	v_add_u32_e32 v0, 0x578, v40
	v_mov_b32_e32 v1, v41
	v_lshl_add_u64 v[0:1], v[0:1], 3, v[8:9]
	v_add_u32_e32 v40, 0x5dc, v40
	s_waitcnt lgkmcnt(0)
	global_store_dwordx2 v[0:1], v[4:5], off
	v_lshl_add_u64 v[0:1], v[40:41], 3, v[8:9]
	global_store_dwordx2 v[0:1], v[6:7], off
.LBB0_27:
	s_endpgm
	.section	.rodata,"a",@progbits
	.p2align	6, 0x0
	.amdhsa_kernel fft_rtc_fwd_len1600_factors_10_16_10_wgs_200_tpt_100_halfLds_sp_op_CI_CI_unitstride_sbrr_C2R_dirReg
		.amdhsa_group_segment_fixed_size 0
		.amdhsa_private_segment_fixed_size 0
		.amdhsa_kernarg_size 104
		.amdhsa_user_sgpr_count 2
		.amdhsa_user_sgpr_dispatch_ptr 0
		.amdhsa_user_sgpr_queue_ptr 0
		.amdhsa_user_sgpr_kernarg_segment_ptr 1
		.amdhsa_user_sgpr_dispatch_id 0
		.amdhsa_user_sgpr_kernarg_preload_length 0
		.amdhsa_user_sgpr_kernarg_preload_offset 0
		.amdhsa_user_sgpr_private_segment_size 0
		.amdhsa_uses_dynamic_stack 0
		.amdhsa_enable_private_segment 0
		.amdhsa_system_sgpr_workgroup_id_x 1
		.amdhsa_system_sgpr_workgroup_id_y 0
		.amdhsa_system_sgpr_workgroup_id_z 0
		.amdhsa_system_sgpr_workgroup_info 0
		.amdhsa_system_vgpr_workitem_id 0
		.amdhsa_next_free_vgpr 102
		.amdhsa_next_free_sgpr 28
		.amdhsa_accum_offset 104
		.amdhsa_reserve_vcc 1
		.amdhsa_float_round_mode_32 0
		.amdhsa_float_round_mode_16_64 0
		.amdhsa_float_denorm_mode_32 3
		.amdhsa_float_denorm_mode_16_64 3
		.amdhsa_dx10_clamp 1
		.amdhsa_ieee_mode 1
		.amdhsa_fp16_overflow 0
		.amdhsa_tg_split 0
		.amdhsa_exception_fp_ieee_invalid_op 0
		.amdhsa_exception_fp_denorm_src 0
		.amdhsa_exception_fp_ieee_div_zero 0
		.amdhsa_exception_fp_ieee_overflow 0
		.amdhsa_exception_fp_ieee_underflow 0
		.amdhsa_exception_fp_ieee_inexact 0
		.amdhsa_exception_int_div_zero 0
	.end_amdhsa_kernel
	.text
.Lfunc_end0:
	.size	fft_rtc_fwd_len1600_factors_10_16_10_wgs_200_tpt_100_halfLds_sp_op_CI_CI_unitstride_sbrr_C2R_dirReg, .Lfunc_end0-fft_rtc_fwd_len1600_factors_10_16_10_wgs_200_tpt_100_halfLds_sp_op_CI_CI_unitstride_sbrr_C2R_dirReg
                                        ; -- End function
	.section	.AMDGPU.csdata,"",@progbits
; Kernel info:
; codeLenInByte = 10176
; NumSgprs: 34
; NumVgprs: 102
; NumAgprs: 0
; TotalNumVgprs: 102
; ScratchSize: 0
; MemoryBound: 0
; FloatMode: 240
; IeeeMode: 1
; LDSByteSize: 0 bytes/workgroup (compile time only)
; SGPRBlocks: 4
; VGPRBlocks: 12
; NumSGPRsForWavesPerEU: 34
; NumVGPRsForWavesPerEU: 102
; AccumOffset: 104
; Occupancy: 4
; WaveLimiterHint : 1
; COMPUTE_PGM_RSRC2:SCRATCH_EN: 0
; COMPUTE_PGM_RSRC2:USER_SGPR: 2
; COMPUTE_PGM_RSRC2:TRAP_HANDLER: 0
; COMPUTE_PGM_RSRC2:TGID_X_EN: 1
; COMPUTE_PGM_RSRC2:TGID_Y_EN: 0
; COMPUTE_PGM_RSRC2:TGID_Z_EN: 0
; COMPUTE_PGM_RSRC2:TIDIG_COMP_CNT: 0
; COMPUTE_PGM_RSRC3_GFX90A:ACCUM_OFFSET: 25
; COMPUTE_PGM_RSRC3_GFX90A:TG_SPLIT: 0
	.text
	.p2alignl 6, 3212836864
	.fill 256, 4, 3212836864
	.type	__hip_cuid_438a4a34cc9b3493,@object ; @__hip_cuid_438a4a34cc9b3493
	.section	.bss,"aw",@nobits
	.globl	__hip_cuid_438a4a34cc9b3493
__hip_cuid_438a4a34cc9b3493:
	.byte	0                               ; 0x0
	.size	__hip_cuid_438a4a34cc9b3493, 1

	.ident	"AMD clang version 19.0.0git (https://github.com/RadeonOpenCompute/llvm-project roc-6.4.0 25133 c7fe45cf4b819c5991fe208aaa96edf142730f1d)"
	.section	".note.GNU-stack","",@progbits
	.addrsig
	.addrsig_sym __hip_cuid_438a4a34cc9b3493
	.amdgpu_metadata
---
amdhsa.kernels:
  - .agpr_count:     0
    .args:
      - .actual_access:  read_only
        .address_space:  global
        .offset:         0
        .size:           8
        .value_kind:     global_buffer
      - .offset:         8
        .size:           8
        .value_kind:     by_value
      - .actual_access:  read_only
        .address_space:  global
        .offset:         16
        .size:           8
        .value_kind:     global_buffer
      - .actual_access:  read_only
        .address_space:  global
        .offset:         24
        .size:           8
        .value_kind:     global_buffer
      - .actual_access:  read_only
        .address_space:  global
        .offset:         32
        .size:           8
        .value_kind:     global_buffer
      - .offset:         40
        .size:           8
        .value_kind:     by_value
      - .actual_access:  read_only
        .address_space:  global
        .offset:         48
        .size:           8
        .value_kind:     global_buffer
      - .actual_access:  read_only
        .address_space:  global
        .offset:         56
        .size:           8
        .value_kind:     global_buffer
      - .offset:         64
        .size:           4
        .value_kind:     by_value
      - .actual_access:  read_only
        .address_space:  global
        .offset:         72
        .size:           8
        .value_kind:     global_buffer
      - .actual_access:  read_only
        .address_space:  global
        .offset:         80
        .size:           8
        .value_kind:     global_buffer
      - .actual_access:  read_only
        .address_space:  global
        .offset:         88
        .size:           8
        .value_kind:     global_buffer
      - .actual_access:  write_only
        .address_space:  global
        .offset:         96
        .size:           8
        .value_kind:     global_buffer
    .group_segment_fixed_size: 0
    .kernarg_segment_align: 8
    .kernarg_segment_size: 104
    .language:       OpenCL C
    .language_version:
      - 2
      - 0
    .max_flat_workgroup_size: 200
    .name:           fft_rtc_fwd_len1600_factors_10_16_10_wgs_200_tpt_100_halfLds_sp_op_CI_CI_unitstride_sbrr_C2R_dirReg
    .private_segment_fixed_size: 0
    .sgpr_count:     34
    .sgpr_spill_count: 0
    .symbol:         fft_rtc_fwd_len1600_factors_10_16_10_wgs_200_tpt_100_halfLds_sp_op_CI_CI_unitstride_sbrr_C2R_dirReg.kd
    .uniform_work_group_size: 1
    .uses_dynamic_stack: false
    .vgpr_count:     102
    .vgpr_spill_count: 0
    .wavefront_size: 64
amdhsa.target:   amdgcn-amd-amdhsa--gfx950
amdhsa.version:
  - 1
  - 2
...

	.end_amdgpu_metadata
